;; amdgpu-corpus repo=zjin-lcf/HeCBench kind=compiled arch=gfx90a opt=O3
	.text
	.amdgcn_target "amdgcn-amd-amdhsa--gfx90a"
	.amdhsa_code_object_version 6
	.protected	_Z14genScoreKerneliPfPKiPKf ; -- Begin function _Z14genScoreKerneliPfPKiPKf
	.globl	_Z14genScoreKerneliPfPKiPKf
	.p2align	8
	.type	_Z14genScoreKerneliPfPKiPKf,@function
_Z14genScoreKerneliPfPKiPKf:            ; @_Z14genScoreKerneliPfPKiPKf
; %bb.0:
	s_load_dword s33, s[4:5], 0x0
	s_add_u32 s0, s0, s9
	v_lshl_add_u32 v11, s8, 8, v0
	s_addc_u32 s1, s1, 0
	v_mov_b32_e32 v4, 0
	s_waitcnt lgkmcnt(0)
	v_cmp_gt_i32_e32 vcc, s33, v11
	buffer_store_dword v4, off, s[0:3], 0 offset:172
	buffer_store_dword v4, off, s[0:3], 0 offset:168
	;; [unrolled: 1-line block ×43, first 2 shown]
	buffer_store_dword v4, off, s[0:3], 0
	buffer_store_dword v4, off, s[0:3], 0 offset:176
	s_and_saveexec_b64 s[6:7], vcc
	s_cbranch_execz .LBB0_215
; %bb.1:
	v_mov_b32_e32 v3, -1
	v_cmp_ne_u32_e32 vcc, 0, v11
	v_mov_b32_e32 v2, v3
	v_mov_b32_e32 v1, v3
	;; [unrolled: 1-line block ×3, first 2 shown]
	s_and_saveexec_b64 s[10:11], vcc
	s_cbranch_execz .LBB0_61
; %bb.2:
	v_cmp_lt_i32_e32 vcc, 0, v11
	v_mov_b32_e32 v6, 1
	v_mov_b32_e32 v4, 0
	s_and_saveexec_b64 s[6:7], vcc
	s_cbranch_execz .LBB0_14
; %bb.3:
	s_mov_b32 s14, 0
	s_mov_b32 s15, 1
	s_mov_b64 s[8:9], 0
.LBB0_4:                                ; =>This Loop Header: Depth=1
                                        ;     Child Loop BB0_6 Depth 2
                                        ;     Child Loop BB0_9 Depth 2
	;; [unrolled: 1-line block ×3, first 2 shown]
	s_mov_b64 s[12:13], -1
	s_cmp_lt_u32 s15, 4
	s_mov_b32 s17, 0
	s_mov_b32 s16, 1
	;; [unrolled: 1-line block ×3, first 2 shown]
	s_cbranch_scc1 .LBB0_8
; %bb.5:                                ;   in Loop: Header=BB0_4 Depth=1
	s_and_b32 s13, s15, -4
	s_mov_b32 s12, 1
	s_mov_b32 s16, 43
	;; [unrolled: 1-line block ×6, first 2 shown]
.LBB0_6:                                ;   Parent Loop BB0_4 Depth=1
                                        ; =>  This Inner Loop Header: Depth=2
	s_add_i32 s18, s17, -2
	s_add_i32 s22, s16, -2
	s_mul_i32 s19, s19, s16
	s_mul_i32 s12, s12, s17
	s_add_i32 s17, s17, -4
	s_add_i32 s16, s16, -4
	s_add_i32 s13, s13, -4
	s_mul_i32 s21, s21, s22
	s_cmp_lg_u32 s13, 0
	s_mul_i32 s20, s20, s18
	s_cbranch_scc1 .LBB0_6
; %bb.7:                                ;   in Loop: Header=BB0_4 Depth=1
	s_and_b32 s17, s15, 0x7ffffffc
	s_sub_i32 s18, 44, s17
	s_mul_i32 s13, s21, s19
	s_mul_i32 s12, s20, s12
	s_cmp_lg_u32 s15, s17
	s_mul_i32 s16, s12, s13
	s_cselect_b64 s[12:13], -1, 0
.LBB0_8:                                ;   in Loop: Header=BB0_4 Depth=1
	s_and_b64 vcc, exec, s[12:13]
	s_cbranch_vccz .LBB0_10
.LBB0_9:                                ;   Parent Loop BB0_4 Depth=1
                                        ; =>  This Inner Loop Header: Depth=2
	s_mul_i32 s16, s16, s18
	s_add_i32 s18, s18, -1
	s_add_i32 s17, s17, 1
	s_cmp_lg_u32 s15, s17
	s_cbranch_scc1 .LBB0_9
.LBB0_10:                               ;   in Loop: Header=BB0_4 Depth=1
	s_mov_b32 s12, s15
.LBB0_11:                               ;   Parent Loop BB0_4 Depth=1
                                        ; =>  This Inner Loop Header: Depth=2
	s_abs_i32 s17, s12
	v_cvt_f32_u32_e32 v0, s17
	s_sub_i32 s18, 0, s17
	s_xor_b32 s13, s16, s12
	s_abs_i32 s16, s16
	v_rcp_iflag_f32_e32 v0, v0
	s_ashr_i32 s13, s13, 31
	v_mul_f32_e32 v0, 0x4f7ffffe, v0
	v_cvt_u32_f32_e32 v0, v0
	v_readfirstlane_b32 s19, v0
	s_mul_i32 s18, s18, s19
	s_mul_hi_u32 s18, s19, s18
	s_add_i32 s19, s19, s18
	s_mul_hi_u32 s18, s16, s19
	s_mul_i32 s19, s18, s17
	s_sub_i32 s16, s16, s19
	s_add_i32 s20, s18, 1
	s_sub_i32 s19, s16, s17
	s_cmp_ge_u32 s16, s17
	s_cselect_b32 s18, s20, s18
	s_cselect_b32 s16, s19, s16
	s_add_i32 s19, s18, 1
	s_cmp_ge_u32 s16, s17
	s_cselect_b32 s16, s19, s18
	s_xor_b32 s16, s16, s13
	s_add_i32 s12, s12, -1
	s_sub_i32 s16, s16, s13
	s_cmp_lg_u32 s12, 0
	s_cbranch_scc1 .LBB0_11
; %bb.12:                               ;   in Loop: Header=BB0_4 Depth=1
	s_add_i32 s14, s16, s14
	s_add_i32 s15, s15, 1
	v_cmp_ge_i32_e32 vcc, s14, v11
	s_or_b64 s[8:9], vcc, s[8:9]
	v_mov_b32_e32 v6, s15
	v_mov_b32_e32 v4, s14
	s_andn2_b64 exec, exec, s[8:9]
	s_cbranch_execnz .LBB0_4
; %bb.13:
	s_or_b64 exec, exec, s[8:9]
.LBB0_14:
	s_or_b64 exec, exec, s[6:7]
	v_add_u32_e32 v7, -1, v6
	v_cmp_lt_u32_e32 vcc, 1, v6
	v_mov_b32_e32 v0, 1
	s_and_saveexec_b64 s[8:9], vcc
	s_cbranch_execz .LBB0_24
; %bb.15:
	v_cmp_lt_u32_e64 s[6:7], 4, v6
	s_mov_b64 s[14:15], -1
	v_mov_b32_e32 v5, 0
	v_mov_b32_e32 v0, 1
	;; [unrolled: 1-line block ×3, first 2 shown]
	s_and_saveexec_b64 s[12:13], s[6:7]
	s_cbranch_execz .LBB0_19
; %bb.16:
	v_and_b32_e32 v5, -4, v7
	s_mov_b32 s14, 1
	s_mov_b32 s20, 43
	;; [unrolled: 1-line block ×3, first 2 shown]
	s_mov_b64 s[16:17], 0
	v_mov_b32_e32 v8, v5
	s_mov_b32 s15, s14
	s_mov_b32 s18, s14
	;; [unrolled: 1-line block ×3, first 2 shown]
.LBB0_17:                               ; =>This Inner Loop Header: Depth=1
	s_add_i32 s6, s21, -2
	s_add_i32 s7, s20, -2
	v_add_u32_e32 v8, -4, v8
	s_mul_i32 s15, s15, s20
	s_mul_i32 s14, s14, s21
	s_add_i32 s21, s21, -4
	s_add_i32 s20, s20, -4
	s_mul_i32 s19, s19, s7
	s_mul_i32 s18, s18, s6
	v_cmp_eq_u32_e64 s[6:7], 0, v8
	v_pk_mov_b32 v[0:1], s[14:15], s[14:15] op_sel:[0,1]
	s_or_b64 s[16:17], s[6:7], s[16:17]
	v_pk_mov_b32 v[2:3], s[18:19], s[18:19] op_sel:[0,1]
	s_andn2_b64 exec, exec, s[16:17]
	s_cbranch_execnz .LBB0_17
; %bb.18:
	s_or_b64 exec, exec, s[16:17]
	v_mul_lo_u32 v1, v3, v1
	v_mul_lo_u32 v0, v2, v0
	v_cmp_ne_u32_e64 s[6:7], v7, v5
	v_sub_u32_e32 v8, 44, v5
	v_mul_lo_u32 v0, v0, v1
	s_orn2_b64 s[14:15], s[6:7], exec
.LBB0_19:
	s_or_b64 exec, exec, s[12:13]
	s_and_saveexec_b64 s[12:13], s[14:15]
	s_cbranch_execz .LBB0_23
; %bb.20:
	v_sub_u32_e32 v1, v7, v5
	s_mov_b64 s[14:15], 0
.LBB0_21:                               ; =>This Inner Loop Header: Depth=1
	v_add_u32_e32 v1, -1, v1
	v_cmp_eq_u32_e64 s[6:7], 0, v1
	v_mul_lo_u32 v0, v0, v8
	s_or_b64 s[14:15], s[6:7], s[14:15]
	v_add_u32_e32 v8, -1, v8
	s_andn2_b64 exec, exec, s[14:15]
	s_cbranch_execnz .LBB0_21
; %bb.22:
	s_or_b64 exec, exec, s[14:15]
.LBB0_23:
	s_or_b64 exec, exec, s[12:13]
.LBB0_24:
	s_or_b64 exec, exec, s[8:9]
	s_and_saveexec_b64 s[6:7], vcc
	s_cbranch_execz .LBB0_28
; %bb.25:
	s_mov_b64 s[8:9], 0
	v_mov_b32_e32 v1, v7
.LBB0_26:                               ; =>This Inner Loop Header: Depth=1
	v_sub_u32_e32 v3, 0, v0
	v_sub_u32_e32 v5, 0, v1
	v_xor_b32_e32 v2, v0, v1
	v_max_i32_e32 v0, v0, v3
	v_max_i32_e32 v3, v1, v5
	v_cvt_f32_u32_e32 v5, v3
	v_sub_u32_e32 v8, 0, v3
	v_add_u32_e32 v1, -1, v1
	v_cmp_eq_u32_e32 vcc, 0, v1
	v_rcp_iflag_f32_e32 v5, v5
	s_or_b64 s[8:9], vcc, s[8:9]
	v_ashrrev_i32_e32 v2, 31, v2
	v_mul_f32_e32 v5, 0x4f7ffffe, v5
	v_cvt_u32_f32_e32 v5, v5
	v_mul_lo_u32 v8, v8, v5
	v_mul_hi_u32 v8, v5, v8
	v_add_u32_e32 v5, v5, v8
	v_mul_hi_u32 v5, v0, v5
	v_mul_lo_u32 v8, v5, v3
	v_sub_u32_e32 v0, v0, v8
	v_add_u32_e32 v9, 1, v5
	v_cmp_ge_u32_e32 vcc, v0, v3
	v_sub_u32_e32 v8, v0, v3
	v_cndmask_b32_e32 v5, v5, v9, vcc
	v_cndmask_b32_e32 v0, v0, v8, vcc
	v_add_u32_e32 v8, 1, v5
	v_cmp_ge_u32_e32 vcc, v0, v3
	v_cndmask_b32_e32 v0, v5, v8, vcc
	v_xor_b32_e32 v0, v0, v2
	v_sub_u32_e32 v0, v0, v2
	s_andn2_b64 exec, exec, s[8:9]
	s_cbranch_execnz .LBB0_26
; %bb.27:
	s_or_b64 exec, exec, s[8:9]
.LBB0_28:
	s_or_b64 exec, exec, s[6:7]
	v_sub_u32_e32 v1, v11, v4
	v_add_u32_e32 v9, v0, v1
	v_cmp_lt_i32_e32 vcc, 2, v6
	s_mov_b32 s24, 0
	v_mov_b32_e32 v16, 0
	v_mov_b32_e32 v15, 0
	;; [unrolled: 1-line block ×7, first 2 shown]
	s_and_saveexec_b64 s[12:13], vcc
	s_cbranch_execz .LBB0_56
; %bb.29:
	v_add_u32_e32 v8, -2, v6
	s_mov_b64 s[14:15], 0
	v_mov_b32_e32 v13, 0
	v_mov_b32_e32 v0, 44
	;; [unrolled: 1-line block ×8, first 2 shown]
.LBB0_30:                               ; =>This Loop Header: Depth=1
                                        ;     Child Loop BB0_32 Depth 2
                                        ;       Child Loop BB0_34 Depth 3
                                        ;       Child Loop BB0_38 Depth 3
	;; [unrolled: 1-line block ×3, first 2 shown]
                                        ;     Child Loop BB0_46 Depth 2
                                        ;     Child Loop BB0_50 Depth 2
                                        ;     Child Loop BB0_53 Depth 2
	v_subrev_u32_e32 v20, s24, v8
	v_and_b32_e32 v21, -4, v17
	v_cmp_lt_i32_e32 vcc, 0, v9
	v_add_u32_e32 v7, -1, v7
	v_and_b32_e32 v19, -4, v20
	v_mov_b32_e32 v4, 0
	v_mov_b32_e32 v18, 0
	s_and_saveexec_b64 s[16:17], vcc
	s_cbranch_execz .LBB0_44
; %bb.31:                               ;   in Loop: Header=BB0_30 Depth=1
	v_and_b32_e32 v1, -4, v20
	v_cmp_lt_u32_e32 vcc, 3, v20
	v_cmp_ne_u32_e64 s[6:7], v20, v1
	s_mov_b32 s25, 1
	s_mov_b64 s[18:19], 0
	v_mov_b32_e32 v18, 0
.LBB0_32:                               ;   Parent Loop BB0_30 Depth=1
                                        ; =>  This Loop Header: Depth=2
                                        ;       Child Loop BB0_34 Depth 3
                                        ;       Child Loop BB0_38 Depth 3
	;; [unrolled: 1-line block ×3, first 2 shown]
	v_subrev_u32_e32 v2, s25, v0
	s_mov_b64 s[8:9], -1
	v_mov_b32_e32 v3, 1
	v_mov_b32_e32 v4, 0
	s_and_saveexec_b64 s[20:21], vcc
	s_cbranch_execz .LBB0_36
; %bb.33:                               ;   in Loop: Header=BB0_32 Depth=2
	v_add_u32_e32 v3, -1, v2
	s_mov_b64 s[22:23], 0
	v_mov_b32_e32 v22, 1
	v_mov_b32_e32 v24, v21
	v_pk_mov_b32 v[4:5], v[2:3], v[2:3] op_sel:[0,1]
	v_mov_b32_e32 v3, 1
	v_mov_b32_e32 v23, 1
	;; [unrolled: 1-line block ×3, first 2 shown]
.LBB0_34:                               ;   Parent Loop BB0_30 Depth=1
                                        ;     Parent Loop BB0_32 Depth=2
                                        ; =>    This Inner Loop Header: Depth=3
	v_add_u32_e32 v24, -4, v24
	v_add_u32_e32 v26, -2, v4
	;; [unrolled: 1-line block ×3, first 2 shown]
	v_cmp_eq_u32_e64 s[8:9], 0, v24
	v_mul_lo_u32 v3, v3, v5
	v_mul_lo_u32 v22, v22, v4
	v_add_u32_e32 v5, -4, v5
	v_add_u32_e32 v4, -4, v4
	v_mul_lo_u32 v25, v25, v27
	s_or_b64 s[22:23], s[8:9], s[22:23]
	v_mul_lo_u32 v23, v23, v26
	s_andn2_b64 exec, exec, s[22:23]
	s_cbranch_execnz .LBB0_34
; %bb.35:                               ;   in Loop: Header=BB0_32 Depth=2
	s_or_b64 exec, exec, s[22:23]
	v_mul_lo_u32 v3, v25, v3
	v_mul_lo_u32 v4, v23, v22
	v_sub_u32_e32 v2, v2, v1
	v_mul_lo_u32 v3, v4, v3
	s_orn2_b64 s[8:9], s[6:7], exec
	v_mov_b32_e32 v4, v1
.LBB0_36:                               ;   in Loop: Header=BB0_32 Depth=2
	s_or_b64 exec, exec, s[20:21]
	s_and_saveexec_b64 s[20:21], s[8:9]
	s_cbranch_execz .LBB0_40
; %bb.37:                               ;   in Loop: Header=BB0_32 Depth=2
	s_mov_b64 s[22:23], 0
.LBB0_38:                               ;   Parent Loop BB0_30 Depth=1
                                        ;     Parent Loop BB0_32 Depth=2
                                        ; =>    This Inner Loop Header: Depth=3
	v_add_u32_e32 v4, 1, v4
	v_cmp_eq_u32_e64 s[8:9], v17, v4
	v_mul_lo_u32 v3, v3, v2
	s_or_b64 s[22:23], s[8:9], s[22:23]
	v_add_u32_e32 v2, -1, v2
	s_andn2_b64 exec, exec, s[22:23]
	s_cbranch_execnz .LBB0_38
; %bb.39:                               ;   in Loop: Header=BB0_32 Depth=2
	s_or_b64 exec, exec, s[22:23]
.LBB0_40:                               ;   in Loop: Header=BB0_32 Depth=2
	s_or_b64 exec, exec, s[20:21]
	s_mov_b64 s[20:21], 0
	v_mov_b32_e32 v2, v7
.LBB0_41:                               ;   Parent Loop BB0_30 Depth=1
                                        ;     Parent Loop BB0_32 Depth=2
                                        ; =>    This Inner Loop Header: Depth=3
	v_sub_u32_e32 v5, 0, v3
	v_sub_u32_e32 v22, 0, v2
	v_xor_b32_e32 v4, v3, v2
	v_max_i32_e32 v3, v3, v5
	v_max_i32_e32 v5, v2, v22
	v_cvt_f32_u32_e32 v22, v5
	v_sub_u32_e32 v23, 0, v5
	v_add_u32_e32 v2, -1, v2
	v_cmp_eq_u32_e64 s[8:9], 0, v2
	v_rcp_iflag_f32_e32 v22, v22
	s_or_b64 s[20:21], s[8:9], s[20:21]
	v_ashrrev_i32_e32 v4, 31, v4
	v_mul_f32_e32 v22, 0x4f7ffffe, v22
	v_cvt_u32_f32_e32 v22, v22
	v_mul_lo_u32 v23, v23, v22
	v_mul_hi_u32 v23, v22, v23
	v_add_u32_e32 v22, v22, v23
	v_mul_hi_u32 v22, v3, v22
	v_mul_lo_u32 v23, v22, v5
	v_sub_u32_e32 v3, v3, v23
	v_add_u32_e32 v24, 1, v22
	v_cmp_ge_u32_e64 s[8:9], v3, v5
	v_sub_u32_e32 v23, v3, v5
	v_cndmask_b32_e64 v22, v22, v24, s[8:9]
	v_cndmask_b32_e64 v3, v3, v23, s[8:9]
	v_add_u32_e32 v23, 1, v22
	v_cmp_ge_u32_e64 s[8:9], v3, v5
	v_cndmask_b32_e64 v3, v22, v23, s[8:9]
	v_xor_b32_e32 v3, v3, v4
	v_sub_u32_e32 v3, v3, v4
	s_andn2_b64 exec, exec, s[20:21]
	s_cbranch_execnz .LBB0_41
; %bb.42:                               ;   in Loop: Header=BB0_32 Depth=2
	s_or_b64 exec, exec, s[20:21]
	v_add_u32_e32 v18, v3, v18
	s_add_i32 s20, s25, 1
	v_cmp_ge_i32_e64 s[8:9], v18, v9
	s_or_b64 s[18:19], s[8:9], s[18:19]
	v_mov_b32_e32 v4, s25
	s_mov_b32 s25, s20
	s_andn2_b64 exec, exec, s[18:19]
	s_cbranch_execnz .LBB0_32
; %bb.43:                               ;   in Loop: Header=BB0_30 Depth=1
	s_or_b64 exec, exec, s[18:19]
.LBB0_44:                               ;   in Loop: Header=BB0_30 Depth=1
	s_or_b64 exec, exec, s[16:17]
	v_sub_u32_e32 v0, v0, v4
	v_cmp_lt_u32_e32 vcc, 3, v20
	s_mov_b64 s[8:9], -1
	v_mov_b32_e32 v3, 0
	v_mov_b32_e32 v1, 1
	;; [unrolled: 1-line block ×3, first 2 shown]
	s_and_saveexec_b64 s[6:7], vcc
	s_cbranch_execz .LBB0_48
; %bb.45:                               ;   in Loop: Header=BB0_30 Depth=1
	v_add_u32_e32 v1, -1, v0
	s_mov_b64 s[8:9], 0
	v_mov_b32_e32 v5, 1
	v_pk_mov_b32 v[2:3], v[0:1], v[0:1] op_sel:[0,1]
	v_mov_b32_e32 v1, 1
	v_mov_b32_e32 v22, 1
	;; [unrolled: 1-line block ×3, first 2 shown]
.LBB0_46:                               ;   Parent Loop BB0_30 Depth=1
                                        ; =>  This Inner Loop Header: Depth=2
	v_add_u32_e32 v21, -4, v21
	v_add_u32_e32 v24, -2, v2
	;; [unrolled: 1-line block ×3, first 2 shown]
	v_cmp_eq_u32_e32 vcc, 0, v21
	v_mul_lo_u32 v1, v1, v3
	v_mul_lo_u32 v5, v5, v2
	v_add_u32_e32 v3, -4, v3
	v_add_u32_e32 v2, -4, v2
	v_mul_lo_u32 v23, v23, v25
	s_or_b64 s[8:9], vcc, s[8:9]
	v_mul_lo_u32 v22, v22, v24
	s_andn2_b64 exec, exec, s[8:9]
	s_cbranch_execnz .LBB0_46
; %bb.47:                               ;   in Loop: Header=BB0_30 Depth=1
	s_or_b64 exec, exec, s[8:9]
	v_mul_lo_u32 v1, v23, v1
	v_mul_lo_u32 v3, v22, v5
	v_cmp_ne_u32_e32 vcc, v20, v19
	v_sub_u32_e32 v2, v0, v19
	v_mul_lo_u32 v1, v3, v1
	s_orn2_b64 s[8:9], vcc, exec
	v_mov_b32_e32 v3, v19
.LBB0_48:                               ;   in Loop: Header=BB0_30 Depth=1
	s_or_b64 exec, exec, s[6:7]
	s_and_saveexec_b64 s[6:7], s[8:9]
	s_cbranch_execz .LBB0_52
; %bb.49:                               ;   in Loop: Header=BB0_30 Depth=1
	s_mov_b64 s[8:9], 0
.LBB0_50:                               ;   Parent Loop BB0_30 Depth=1
                                        ; =>  This Inner Loop Header: Depth=2
	v_add_u32_e32 v3, 1, v3
	v_cmp_eq_u32_e32 vcc, v17, v3
	v_mul_lo_u32 v1, v1, v2
	s_or_b64 s[8:9], vcc, s[8:9]
	v_add_u32_e32 v2, -1, v2
	s_andn2_b64 exec, exec, s[8:9]
	s_cbranch_execnz .LBB0_50
; %bb.51:                               ;   in Loop: Header=BB0_30 Depth=1
	s_or_b64 exec, exec, s[8:9]
.LBB0_52:                               ;   in Loop: Header=BB0_30 Depth=1
	s_or_b64 exec, exec, s[6:7]
	s_mov_b64 s[6:7], 0
	v_mov_b32_e32 v2, v7
.LBB0_53:                               ;   Parent Loop BB0_30 Depth=1
                                        ; =>  This Inner Loop Header: Depth=2
	v_sub_u32_e32 v5, 0, v1
	v_sub_u32_e32 v19, 0, v2
	v_xor_b32_e32 v3, v1, v2
	v_max_i32_e32 v1, v1, v5
	v_max_i32_e32 v5, v2, v19
	v_cvt_f32_u32_e32 v19, v5
	v_sub_u32_e32 v20, 0, v5
	v_add_u32_e32 v2, -1, v2
	v_cmp_eq_u32_e32 vcc, 0, v2
	v_rcp_iflag_f32_e32 v19, v19
	s_or_b64 s[6:7], vcc, s[6:7]
	v_ashrrev_i32_e32 v3, 31, v3
	v_mul_f32_e32 v19, 0x4f7ffffe, v19
	v_cvt_u32_f32_e32 v19, v19
	v_mul_lo_u32 v20, v20, v19
	v_mul_hi_u32 v20, v19, v20
	v_add_u32_e32 v19, v19, v20
	v_mul_hi_u32 v19, v1, v19
	v_mul_lo_u32 v20, v19, v5
	v_sub_u32_e32 v1, v1, v20
	v_add_u32_e32 v21, 1, v19
	v_cmp_ge_u32_e32 vcc, v1, v5
	v_sub_u32_e32 v20, v1, v5
	v_cndmask_b32_e32 v19, v19, v21, vcc
	v_cndmask_b32_e32 v1, v1, v20, vcc
	v_add_u32_e32 v20, 1, v19
	v_cmp_ge_u32_e32 vcc, v1, v5
	v_cndmask_b32_e32 v1, v19, v20, vcc
	v_xor_b32_e32 v1, v1, v3
	v_sub_u32_e32 v1, v1, v3
	s_andn2_b64 exec, exec, s[6:7]
	s_cbranch_execnz .LBB0_53
; %bb.54:                               ;   in Loop: Header=BB0_30 Depth=1
	s_or_b64 exec, exec, s[6:7]
	s_add_i32 s6, s24, 1
	s_cmp_eq_u32 s24, 0
	v_add_u32_e32 v13, v4, v13
	s_cselect_b64 vcc, -1, 0
	s_cmp_eq_u32 s24, 1
	v_cndmask_b32_e32 v10, v10, v13, vcc
	s_cselect_b64 vcc, -1, 0
	s_cmp_eq_u32 s24, 2
	v_cndmask_b32_e32 v12, v12, v13, vcc
	;; [unrolled: 3-line block ×4, first 2 shown]
	s_cselect_b64 vcc, -1, 0
	v_sub_u32_e32 v2, v9, v18
	v_cndmask_b32_e32 v16, v16, v13, vcc
	v_cmp_eq_u32_e32 vcc, s6, v8
	v_add_u32_e32 v9, v1, v2
	v_add_u32_e32 v17, -1, v17
	s_or_b64 s[14:15], vcc, s[14:15]
	s_mov_b32 s24, s6
	s_andn2_b64 exec, exec, s[14:15]
	s_cbranch_execnz .LBB0_30
; %bb.55:
	s_or_b64 exec, exec, s[14:15]
.LBB0_56:
	s_or_b64 exec, exec, s[12:13]
	v_add_u32_e32 v0, v13, v9
	v_cmp_eq_u32_e32 vcc, 4, v8
	v_cndmask_b32_e32 v4, v16, v0, vcc
	v_cmp_eq_u32_e32 vcc, 3, v8
	v_cndmask_b32_e32 v3, v15, v0, vcc
	v_cmp_eq_u32_e32 vcc, 2, v8
	v_cndmask_b32_e32 v2, v14, v0, vcc
	v_cmp_eq_u32_e32 vcc, 1, v8
	v_cndmask_b32_e32 v1, v12, v0, vcc
	v_cmp_eq_u32_e32 vcc, 0, v8
	v_cndmask_b32_e32 v0, v10, v0, vcc
	v_cmp_gt_u32_e32 vcc, 3, v8
	s_and_saveexec_b64 s[8:9], vcc
	s_cbranch_execz .LBB0_60
; %bb.57:
	v_max_i32_e32 v5, 2, v6
	v_add_u32_e32 v7, -3, v5
	v_add_u32_e32 v6, -1, v5
	v_mov_b32_e32 v5, 0
	s_mov_b64 s[12:13], 0
.LBB0_58:                               ; =>This Inner Loop Header: Depth=1
	v_cmp_ne_u32_e32 vcc, 4, v6
	v_cndmask_b32_e32 v4, -1, v4, vcc
	v_cmp_ne_u32_e32 vcc, 3, v6
	v_cndmask_b32_e32 v3, -1, v3, vcc
	;; [unrolled: 2-line block ×4, first 2 shown]
	v_cmp_ne_u32_e32 vcc, 0, v6
	v_add_u32_e32 v7, 1, v7
	v_cndmask_b32_e32 v0, -1, v0, vcc
	v_add_co_u32_e32 v6, vcc, 1, v6
	v_cmp_lt_u32_e64 s[6:7], 1, v7
	s_or_b64 s[12:13], s[6:7], s[12:13]
	v_addc_co_u32_e32 v5, vcc, 0, v5, vcc
	s_andn2_b64 exec, exec, s[12:13]
	s_cbranch_execnz .LBB0_58
; %bb.59:
	s_or_b64 exec, exec, s[12:13]
.LBB0_60:
	s_or_b64 exec, exec, s[8:9]
.LBB0_61:
	s_or_b64 exec, exec, s[10:11]
	s_load_dwordx4 s[24:27], s[4:5], 0x8
	s_load_dwordx2 s[14:15], s[4:5], 0x18
	v_cmp_lt_i32_e32 vcc, 0, v2
	s_mov_b32 s17, 0
	v_cmp_lt_i32_e64 s[4:5], 0, v0
	v_cndmask_b32_e64 v7, 0, 1, vcc
	v_cmp_lt_i32_e32 vcc, 0, v3
	v_cmp_lt_i32_e64 s[6:7], 0, v1
	s_waitcnt lgkmcnt(0)
	s_add_u32 s52, s26, 0xb4
	v_cndmask_b32_e64 v6, 0, 1, s[4:5]
	v_cndmask_b32_e64 v8, 0, 1, vcc
	v_addc_co_u32_e64 v7, s[6:7], 0, v7, s[6:7]
	s_addc_u32 s53, s27, 0
	s_mov_b32 s16, s17
	v_mov_b32_e32 v5, 0
	v_addc_co_u32_e32 v18, vcc, v7, v6, vcc
	s_add_u32 s54, s26, 0x168
	v_addc_co_u32_e64 v19, s[4:5], v7, v8, s[4:5]
	s_mov_b32 s18, s17
	s_mov_b32 s19, s17
	;; [unrolled: 1-line block ×3, first 2 shown]
	v_mov_b32_e32 v6, s16
	v_or_b32_e32 v16, 8, v5
	v_or_b32_e32 v17, 4, v5
	v_cmp_ne_u32_e32 vcc, 0, v18
	s_addc_u32 s55, s27, 0
	v_mov_b32_e32 v20, 0
	v_mov_b32_e32 v21, 3
	v_mov_b32_e32 v22, 4
	v_mov_b32_e32 v23, 5
	v_mov_b32_e32 v24, 6
	v_mov_b32_e32 v25, 7
	v_mov_b32_e32 v26, 8
	v_mov_b32_e32 v27, 9
	v_mov_b32_e32 v28, 10
	v_mov_b32_e32 v29, 11
	v_mov_b32_e32 v30, 12
	v_mov_b32_e32 v31, 13
	v_mov_b32_e32 v32, 14
	v_mov_b32_e32 v33, 15
	v_mov_b32_e32 v34, 16
	v_mov_b32_e32 v35, 17
	v_mov_b32_e32 v36, 18
	v_mov_b32_e32 v37, 19
	v_mov_b32_e32 v38, 20
	v_mov_b32_e32 v39, 21
	v_mov_b32_e32 v40, 22
	v_mov_b32_e32 v41, 23
	v_mov_b32_e32 v42, 24
	v_mov_b32_e32 v43, 25
	v_mov_b32_e32 v44, 26
	v_mov_b32_e32 v45, 27
	v_mov_b32_e32 v46, 28
	v_mov_b32_e32 v47, 29
	v_mov_b32_e32 v48, 30
	v_mov_b32_e32 v49, 31
	v_mov_b32_e32 v50, 32
	v_mov_b32_e32 v51, 33
	v_mov_b32_e32 v52, 34
	v_mov_b32_e32 v53, 35
	s_mov_b32 s56, s17
	v_mov_b32_e32 v54, 36
	v_mov_b32_e32 v55, 37
	;; [unrolled: 1-line block ×14, first 2 shown]
	s_branch .LBB0_63
.LBB0_62:                               ;   in Loop: Header=BB0_63 Depth=1
	s_or_b64 exec, exec, s[18:19]
	s_add_i32 s56, s56, 1
	s_cmp_lg_u32 s56, 45
	s_cbranch_scc0 .LBB0_215
.LBB0_63:                               ; =>This Loop Header: Depth=1
                                        ;     Child Loop BB0_155 Depth 2
                                        ;     Child Loop BB0_160 Depth 2
                                        ;       Child Loop BB0_162 Depth 3
                                        ;       Child Loop BB0_176 Depth 3
	;; [unrolled: 1-line block ×3, first 2 shown]
                                        ;         Child Loop BB0_199 Depth 4
                                        ;         Child Loop BB0_205 Depth 4
                                        ;         Child Loop BB0_211 Depth 4
	s_cmp_eq_u32 s56, 0
	v_mov_b32_e32 v12, v17
	s_mov_b32 s4, 1
	s_cbranch_scc1 .LBB0_65
; %bb.64:                               ;   in Loop: Header=BB0_63 Depth=1
	s_mov_b32 s4, 2
	v_mov_b32_e32 v12, v16
	buffer_store_dword v20, off, s[0:3], 0 offset:4
.LBB0_65:                               ;   in Loop: Header=BB0_63 Depth=1
	s_cmp_eq_u32 s56, 1
	s_cbranch_scc0 .LBB0_110
; %bb.66:                               ;   in Loop: Header=BB0_63 Depth=1
	s_cmp_eq_u32 s56, 2
	s_cbranch_scc0 .LBB0_111
.LBB0_67:                               ;   in Loop: Header=BB0_63 Depth=1
	s_cmp_eq_u32 s56, 3
	s_cbranch_scc0 .LBB0_112
.LBB0_68:                               ;   in Loop: Header=BB0_63 Depth=1
	s_cmp_eq_u32 s56, 4
	s_cbranch_scc0 .LBB0_113
.LBB0_69:                               ;   in Loop: Header=BB0_63 Depth=1
	s_cmp_eq_u32 s56, 5
	s_cbranch_scc0 .LBB0_114
.LBB0_70:                               ;   in Loop: Header=BB0_63 Depth=1
	s_cmp_eq_u32 s56, 6
	s_cbranch_scc0 .LBB0_115
.LBB0_71:                               ;   in Loop: Header=BB0_63 Depth=1
	s_cmp_eq_u32 s56, 7
	s_cbranch_scc0 .LBB0_116
.LBB0_72:                               ;   in Loop: Header=BB0_63 Depth=1
	s_cmp_eq_u32 s56, 8
	s_cbranch_scc0 .LBB0_117
.LBB0_73:                               ;   in Loop: Header=BB0_63 Depth=1
	s_cmp_eq_u32 s56, 9
	s_cbranch_scc0 .LBB0_118
.LBB0_74:                               ;   in Loop: Header=BB0_63 Depth=1
	s_cmp_eq_u32 s56, 10
	s_cbranch_scc0 .LBB0_119
.LBB0_75:                               ;   in Loop: Header=BB0_63 Depth=1
	s_cmp_eq_u32 s56, 11
	s_cbranch_scc0 .LBB0_120
.LBB0_76:                               ;   in Loop: Header=BB0_63 Depth=1
	s_cmp_eq_u32 s56, 12
	s_cbranch_scc0 .LBB0_121
.LBB0_77:                               ;   in Loop: Header=BB0_63 Depth=1
	s_cmp_eq_u32 s56, 13
	s_cbranch_scc0 .LBB0_122
.LBB0_78:                               ;   in Loop: Header=BB0_63 Depth=1
	s_cmp_eq_u32 s56, 14
	s_cbranch_scc0 .LBB0_123
.LBB0_79:                               ;   in Loop: Header=BB0_63 Depth=1
	s_cmp_eq_u32 s56, 15
	s_cbranch_scc0 .LBB0_124
.LBB0_80:                               ;   in Loop: Header=BB0_63 Depth=1
	s_cmp_eq_u32 s56, 16
	s_cbranch_scc0 .LBB0_125
.LBB0_81:                               ;   in Loop: Header=BB0_63 Depth=1
	s_cmp_eq_u32 s56, 17
	s_cbranch_scc0 .LBB0_126
.LBB0_82:                               ;   in Loop: Header=BB0_63 Depth=1
	s_cmp_eq_u32 s56, 18
	s_cbranch_scc0 .LBB0_127
.LBB0_83:                               ;   in Loop: Header=BB0_63 Depth=1
	s_cmp_eq_u32 s56, 19
	s_cbranch_scc0 .LBB0_128
.LBB0_84:                               ;   in Loop: Header=BB0_63 Depth=1
	s_cmp_eq_u32 s56, 20
	s_cbranch_scc0 .LBB0_129
.LBB0_85:                               ;   in Loop: Header=BB0_63 Depth=1
	s_cmp_eq_u32 s56, 21
	s_cbranch_scc0 .LBB0_130
.LBB0_86:                               ;   in Loop: Header=BB0_63 Depth=1
	s_cmp_eq_u32 s56, 22
	s_cbranch_scc0 .LBB0_131
.LBB0_87:                               ;   in Loop: Header=BB0_63 Depth=1
	s_cmp_eq_u32 s56, 23
	s_cbranch_scc0 .LBB0_132
.LBB0_88:                               ;   in Loop: Header=BB0_63 Depth=1
	s_cmp_eq_u32 s56, 24
	s_cbranch_scc0 .LBB0_133
.LBB0_89:                               ;   in Loop: Header=BB0_63 Depth=1
	s_cmp_eq_u32 s56, 25
	s_cbranch_scc0 .LBB0_134
.LBB0_90:                               ;   in Loop: Header=BB0_63 Depth=1
	s_cmp_eq_u32 s56, 26
	s_cbranch_scc0 .LBB0_135
.LBB0_91:                               ;   in Loop: Header=BB0_63 Depth=1
	s_cmp_eq_u32 s56, 27
	s_cbranch_scc0 .LBB0_136
.LBB0_92:                               ;   in Loop: Header=BB0_63 Depth=1
	s_cmp_eq_u32 s56, 28
	s_cbranch_scc0 .LBB0_137
.LBB0_93:                               ;   in Loop: Header=BB0_63 Depth=1
	s_cmp_eq_u32 s56, 29
	s_cbranch_scc0 .LBB0_138
.LBB0_94:                               ;   in Loop: Header=BB0_63 Depth=1
	s_cmp_eq_u32 s56, 30
	s_cbranch_scc0 .LBB0_139
.LBB0_95:                               ;   in Loop: Header=BB0_63 Depth=1
	s_cmp_eq_u32 s56, 31
	s_cbranch_scc0 .LBB0_140
.LBB0_96:                               ;   in Loop: Header=BB0_63 Depth=1
	s_cmp_eq_u32 s56, 32
	s_cbranch_scc0 .LBB0_141
.LBB0_97:                               ;   in Loop: Header=BB0_63 Depth=1
	s_cmp_eq_u32 s56, 33
	s_cbranch_scc0 .LBB0_142
.LBB0_98:                               ;   in Loop: Header=BB0_63 Depth=1
	s_cmp_eq_u32 s56, 34
	s_cbranch_scc0 .LBB0_143
.LBB0_99:                               ;   in Loop: Header=BB0_63 Depth=1
	s_cmp_eq_u32 s56, 35
	s_cbranch_scc0 .LBB0_144
.LBB0_100:                              ;   in Loop: Header=BB0_63 Depth=1
	s_cmp_eq_u32 s56, 36
	s_cbranch_scc0 .LBB0_145
.LBB0_101:                              ;   in Loop: Header=BB0_63 Depth=1
	s_cmp_eq_u32 s56, 37
	s_cbranch_scc0 .LBB0_146
.LBB0_102:                              ;   in Loop: Header=BB0_63 Depth=1
	s_cmp_eq_u32 s56, 38
	s_cbranch_scc0 .LBB0_147
.LBB0_103:                              ;   in Loop: Header=BB0_63 Depth=1
	s_cmp_eq_u32 s56, 39
	s_cbranch_scc0 .LBB0_148
.LBB0_104:                              ;   in Loop: Header=BB0_63 Depth=1
	s_cmp_eq_u32 s56, 40
	s_cbranch_scc0 .LBB0_149
.LBB0_105:                              ;   in Loop: Header=BB0_63 Depth=1
	s_cmp_eq_u32 s56, 41
	s_cbranch_scc0 .LBB0_150
.LBB0_106:                              ;   in Loop: Header=BB0_63 Depth=1
	s_cmp_eq_u32 s56, 42
	s_cbranch_scc0 .LBB0_151
.LBB0_107:                              ;   in Loop: Header=BB0_63 Depth=1
	s_cmp_eq_u32 s56, 43
	s_cbranch_scc0 .LBB0_152
.LBB0_108:                              ;   in Loop: Header=BB0_63 Depth=1
	s_cmp_eq_u32 s56, 44
	s_cbranch_scc0 .LBB0_153
.LBB0_109:                              ;   in Loop: Header=BB0_63 Depth=1
	s_and_saveexec_b64 s[8:9], vcc
	s_cbranch_execnz .LBB0_154
	s_branch .LBB0_157
.LBB0_110:                              ;   in Loop: Header=BB0_63 Depth=1
	s_add_i32 s4, s4, 1
	v_mov_b32_e32 v13, 1
	buffer_store_dword v13, v12, s[0:3], 0 offen
	s_cmp_eq_u32 s56, 2
	s_cbranch_scc1 .LBB0_67
.LBB0_111:                              ;   in Loop: Header=BB0_63 Depth=1
	s_lshl_b32 s5, s4, 2
	v_add_u32_e32 v12, s5, v5
	s_add_i32 s4, s4, 1
	buffer_store_dword v63, v12, s[0:3], 0 offen
	s_cmp_eq_u32 s56, 3
	s_cbranch_scc1 .LBB0_68
.LBB0_112:                              ;   in Loop: Header=BB0_63 Depth=1
	s_lshl_b32 s5, s4, 2
	v_add_u32_e32 v12, s5, v5
	s_add_i32 s4, s4, 1
	buffer_store_dword v21, v12, s[0:3], 0 offen
	s_cmp_eq_u32 s56, 4
	s_cbranch_scc1 .LBB0_69
.LBB0_113:                              ;   in Loop: Header=BB0_63 Depth=1
	s_lshl_b32 s5, s4, 2
	v_add_u32_e32 v12, s5, v5
	s_add_i32 s4, s4, 1
	buffer_store_dword v22, v12, s[0:3], 0 offen
	s_cmp_eq_u32 s56, 5
	s_cbranch_scc1 .LBB0_70
.LBB0_114:                              ;   in Loop: Header=BB0_63 Depth=1
	s_lshl_b32 s5, s4, 2
	v_add_u32_e32 v12, s5, v5
	s_add_i32 s4, s4, 1
	buffer_store_dword v23, v12, s[0:3], 0 offen
	s_cmp_eq_u32 s56, 6
	s_cbranch_scc1 .LBB0_71
.LBB0_115:                              ;   in Loop: Header=BB0_63 Depth=1
	s_lshl_b32 s5, s4, 2
	v_add_u32_e32 v12, s5, v5
	s_add_i32 s4, s4, 1
	buffer_store_dword v24, v12, s[0:3], 0 offen
	s_cmp_eq_u32 s56, 7
	s_cbranch_scc1 .LBB0_72
.LBB0_116:                              ;   in Loop: Header=BB0_63 Depth=1
	s_lshl_b32 s5, s4, 2
	v_add_u32_e32 v12, s5, v5
	s_add_i32 s4, s4, 1
	buffer_store_dword v25, v12, s[0:3], 0 offen
	s_cmp_eq_u32 s56, 8
	s_cbranch_scc1 .LBB0_73
.LBB0_117:                              ;   in Loop: Header=BB0_63 Depth=1
	s_lshl_b32 s5, s4, 2
	v_add_u32_e32 v12, s5, v5
	s_add_i32 s4, s4, 1
	buffer_store_dword v26, v12, s[0:3], 0 offen
	s_cmp_eq_u32 s56, 9
	s_cbranch_scc1 .LBB0_74
.LBB0_118:                              ;   in Loop: Header=BB0_63 Depth=1
	s_lshl_b32 s5, s4, 2
	v_add_u32_e32 v12, s5, v5
	s_add_i32 s4, s4, 1
	buffer_store_dword v27, v12, s[0:3], 0 offen
	s_cmp_eq_u32 s56, 10
	s_cbranch_scc1 .LBB0_75
.LBB0_119:                              ;   in Loop: Header=BB0_63 Depth=1
	s_lshl_b32 s5, s4, 2
	v_add_u32_e32 v12, s5, v5
	s_add_i32 s4, s4, 1
	buffer_store_dword v28, v12, s[0:3], 0 offen
	s_cmp_eq_u32 s56, 11
	s_cbranch_scc1 .LBB0_76
.LBB0_120:                              ;   in Loop: Header=BB0_63 Depth=1
	s_lshl_b32 s5, s4, 2
	v_add_u32_e32 v12, s5, v5
	s_add_i32 s4, s4, 1
	buffer_store_dword v29, v12, s[0:3], 0 offen
	s_cmp_eq_u32 s56, 12
	s_cbranch_scc1 .LBB0_77
.LBB0_121:                              ;   in Loop: Header=BB0_63 Depth=1
	s_lshl_b32 s5, s4, 2
	v_add_u32_e32 v12, s5, v5
	s_add_i32 s4, s4, 1
	buffer_store_dword v30, v12, s[0:3], 0 offen
	s_cmp_eq_u32 s56, 13
	s_cbranch_scc1 .LBB0_78
.LBB0_122:                              ;   in Loop: Header=BB0_63 Depth=1
	s_lshl_b32 s5, s4, 2
	v_add_u32_e32 v12, s5, v5
	s_add_i32 s4, s4, 1
	buffer_store_dword v31, v12, s[0:3], 0 offen
	s_cmp_eq_u32 s56, 14
	s_cbranch_scc1 .LBB0_79
.LBB0_123:                              ;   in Loop: Header=BB0_63 Depth=1
	s_lshl_b32 s5, s4, 2
	v_add_u32_e32 v12, s5, v5
	s_add_i32 s4, s4, 1
	buffer_store_dword v32, v12, s[0:3], 0 offen
	s_cmp_eq_u32 s56, 15
	s_cbranch_scc1 .LBB0_80
.LBB0_124:                              ;   in Loop: Header=BB0_63 Depth=1
	s_lshl_b32 s5, s4, 2
	v_add_u32_e32 v12, s5, v5
	s_add_i32 s4, s4, 1
	buffer_store_dword v33, v12, s[0:3], 0 offen
	s_cmp_eq_u32 s56, 16
	s_cbranch_scc1 .LBB0_81
.LBB0_125:                              ;   in Loop: Header=BB0_63 Depth=1
	s_lshl_b32 s5, s4, 2
	v_add_u32_e32 v12, s5, v5
	s_add_i32 s4, s4, 1
	buffer_store_dword v34, v12, s[0:3], 0 offen
	s_cmp_eq_u32 s56, 17
	s_cbranch_scc1 .LBB0_82
.LBB0_126:                              ;   in Loop: Header=BB0_63 Depth=1
	s_lshl_b32 s5, s4, 2
	v_add_u32_e32 v12, s5, v5
	s_add_i32 s4, s4, 1
	buffer_store_dword v35, v12, s[0:3], 0 offen
	s_cmp_eq_u32 s56, 18
	s_cbranch_scc1 .LBB0_83
.LBB0_127:                              ;   in Loop: Header=BB0_63 Depth=1
	s_lshl_b32 s5, s4, 2
	v_add_u32_e32 v12, s5, v5
	s_add_i32 s4, s4, 1
	buffer_store_dword v36, v12, s[0:3], 0 offen
	s_cmp_eq_u32 s56, 19
	s_cbranch_scc1 .LBB0_84
.LBB0_128:                              ;   in Loop: Header=BB0_63 Depth=1
	s_lshl_b32 s5, s4, 2
	v_add_u32_e32 v12, s5, v5
	s_add_i32 s4, s4, 1
	buffer_store_dword v37, v12, s[0:3], 0 offen
	s_cmp_eq_u32 s56, 20
	s_cbranch_scc1 .LBB0_85
.LBB0_129:                              ;   in Loop: Header=BB0_63 Depth=1
	s_lshl_b32 s5, s4, 2
	v_add_u32_e32 v12, s5, v5
	s_add_i32 s4, s4, 1
	buffer_store_dword v38, v12, s[0:3], 0 offen
	s_cmp_eq_u32 s56, 21
	s_cbranch_scc1 .LBB0_86
.LBB0_130:                              ;   in Loop: Header=BB0_63 Depth=1
	s_lshl_b32 s5, s4, 2
	v_add_u32_e32 v12, s5, v5
	s_add_i32 s4, s4, 1
	buffer_store_dword v39, v12, s[0:3], 0 offen
	s_cmp_eq_u32 s56, 22
	s_cbranch_scc1 .LBB0_87
.LBB0_131:                              ;   in Loop: Header=BB0_63 Depth=1
	s_lshl_b32 s5, s4, 2
	v_add_u32_e32 v12, s5, v5
	s_add_i32 s4, s4, 1
	buffer_store_dword v40, v12, s[0:3], 0 offen
	s_cmp_eq_u32 s56, 23
	s_cbranch_scc1 .LBB0_88
.LBB0_132:                              ;   in Loop: Header=BB0_63 Depth=1
	s_lshl_b32 s5, s4, 2
	v_add_u32_e32 v12, s5, v5
	s_add_i32 s4, s4, 1
	buffer_store_dword v41, v12, s[0:3], 0 offen
	s_cmp_eq_u32 s56, 24
	s_cbranch_scc1 .LBB0_89
.LBB0_133:                              ;   in Loop: Header=BB0_63 Depth=1
	s_lshl_b32 s5, s4, 2
	v_add_u32_e32 v12, s5, v5
	s_add_i32 s4, s4, 1
	buffer_store_dword v42, v12, s[0:3], 0 offen
	s_cmp_eq_u32 s56, 25
	s_cbranch_scc1 .LBB0_90
.LBB0_134:                              ;   in Loop: Header=BB0_63 Depth=1
	s_lshl_b32 s5, s4, 2
	v_add_u32_e32 v12, s5, v5
	s_add_i32 s4, s4, 1
	buffer_store_dword v43, v12, s[0:3], 0 offen
	s_cmp_eq_u32 s56, 26
	s_cbranch_scc1 .LBB0_91
.LBB0_135:                              ;   in Loop: Header=BB0_63 Depth=1
	s_lshl_b32 s5, s4, 2
	v_add_u32_e32 v12, s5, v5
	s_add_i32 s4, s4, 1
	buffer_store_dword v44, v12, s[0:3], 0 offen
	s_cmp_eq_u32 s56, 27
	s_cbranch_scc1 .LBB0_92
.LBB0_136:                              ;   in Loop: Header=BB0_63 Depth=1
	s_lshl_b32 s5, s4, 2
	v_add_u32_e32 v12, s5, v5
	s_add_i32 s4, s4, 1
	buffer_store_dword v45, v12, s[0:3], 0 offen
	s_cmp_eq_u32 s56, 28
	s_cbranch_scc1 .LBB0_93
.LBB0_137:                              ;   in Loop: Header=BB0_63 Depth=1
	s_lshl_b32 s5, s4, 2
	v_add_u32_e32 v12, s5, v5
	s_add_i32 s4, s4, 1
	buffer_store_dword v46, v12, s[0:3], 0 offen
	s_cmp_eq_u32 s56, 29
	s_cbranch_scc1 .LBB0_94
.LBB0_138:                              ;   in Loop: Header=BB0_63 Depth=1
	s_lshl_b32 s5, s4, 2
	v_add_u32_e32 v12, s5, v5
	s_add_i32 s4, s4, 1
	buffer_store_dword v47, v12, s[0:3], 0 offen
	s_cmp_eq_u32 s56, 30
	s_cbranch_scc1 .LBB0_95
.LBB0_139:                              ;   in Loop: Header=BB0_63 Depth=1
	s_lshl_b32 s5, s4, 2
	v_add_u32_e32 v12, s5, v5
	s_add_i32 s4, s4, 1
	buffer_store_dword v48, v12, s[0:3], 0 offen
	s_cmp_eq_u32 s56, 31
	s_cbranch_scc1 .LBB0_96
.LBB0_140:                              ;   in Loop: Header=BB0_63 Depth=1
	s_lshl_b32 s5, s4, 2
	v_add_u32_e32 v12, s5, v5
	s_add_i32 s4, s4, 1
	buffer_store_dword v49, v12, s[0:3], 0 offen
	s_cmp_eq_u32 s56, 32
	s_cbranch_scc1 .LBB0_97
.LBB0_141:                              ;   in Loop: Header=BB0_63 Depth=1
	s_lshl_b32 s5, s4, 2
	v_add_u32_e32 v12, s5, v5
	s_add_i32 s4, s4, 1
	buffer_store_dword v50, v12, s[0:3], 0 offen
	s_cmp_eq_u32 s56, 33
	s_cbranch_scc1 .LBB0_98
.LBB0_142:                              ;   in Loop: Header=BB0_63 Depth=1
	s_lshl_b32 s5, s4, 2
	v_add_u32_e32 v12, s5, v5
	s_add_i32 s4, s4, 1
	buffer_store_dword v51, v12, s[0:3], 0 offen
	s_cmp_eq_u32 s56, 34
	s_cbranch_scc1 .LBB0_99
.LBB0_143:                              ;   in Loop: Header=BB0_63 Depth=1
	s_lshl_b32 s5, s4, 2
	v_add_u32_e32 v12, s5, v5
	s_add_i32 s4, s4, 1
	buffer_store_dword v52, v12, s[0:3], 0 offen
	s_cmp_eq_u32 s56, 35
	s_cbranch_scc1 .LBB0_100
.LBB0_144:                              ;   in Loop: Header=BB0_63 Depth=1
	s_lshl_b32 s5, s4, 2
	v_add_u32_e32 v12, s5, v5
	s_add_i32 s4, s4, 1
	buffer_store_dword v53, v12, s[0:3], 0 offen
	s_cmp_eq_u32 s56, 36
	s_cbranch_scc1 .LBB0_101
.LBB0_145:                              ;   in Loop: Header=BB0_63 Depth=1
	s_lshl_b32 s5, s4, 2
	v_add_u32_e32 v12, s5, v5
	s_add_i32 s4, s4, 1
	buffer_store_dword v54, v12, s[0:3], 0 offen
	s_cmp_eq_u32 s56, 37
	s_cbranch_scc1 .LBB0_102
.LBB0_146:                              ;   in Loop: Header=BB0_63 Depth=1
	s_lshl_b32 s5, s4, 2
	v_add_u32_e32 v12, s5, v5
	s_add_i32 s4, s4, 1
	buffer_store_dword v55, v12, s[0:3], 0 offen
	s_cmp_eq_u32 s56, 38
	s_cbranch_scc1 .LBB0_103
.LBB0_147:                              ;   in Loop: Header=BB0_63 Depth=1
	s_lshl_b32 s5, s4, 2
	v_add_u32_e32 v12, s5, v5
	s_add_i32 s4, s4, 1
	buffer_store_dword v56, v12, s[0:3], 0 offen
	s_cmp_eq_u32 s56, 39
	s_cbranch_scc1 .LBB0_104
.LBB0_148:                              ;   in Loop: Header=BB0_63 Depth=1
	s_lshl_b32 s5, s4, 2
	v_add_u32_e32 v12, s5, v5
	s_add_i32 s4, s4, 1
	buffer_store_dword v57, v12, s[0:3], 0 offen
	s_cmp_eq_u32 s56, 40
	s_cbranch_scc1 .LBB0_105
.LBB0_149:                              ;   in Loop: Header=BB0_63 Depth=1
	s_lshl_b32 s5, s4, 2
	v_add_u32_e32 v12, s5, v5
	s_add_i32 s4, s4, 1
	buffer_store_dword v58, v12, s[0:3], 0 offen
	s_cmp_eq_u32 s56, 41
	s_cbranch_scc1 .LBB0_106
.LBB0_150:                              ;   in Loop: Header=BB0_63 Depth=1
	s_lshl_b32 s5, s4, 2
	v_add_u32_e32 v12, s5, v5
	s_add_i32 s4, s4, 1
	buffer_store_dword v59, v12, s[0:3], 0 offen
	s_cmp_eq_u32 s56, 42
	s_cbranch_scc1 .LBB0_107
.LBB0_151:                              ;   in Loop: Header=BB0_63 Depth=1
	s_lshl_b32 s5, s4, 2
	v_add_u32_e32 v12, s5, v5
	s_add_i32 s4, s4, 1
	buffer_store_dword v60, v12, s[0:3], 0 offen
	s_cmp_eq_u32 s56, 43
	s_cbranch_scc1 .LBB0_108
.LBB0_152:                              ;   in Loop: Header=BB0_63 Depth=1
	s_lshl_b32 s5, s4, 2
	v_add_u32_e32 v12, s5, v5
	s_add_i32 s4, s4, 1
	buffer_store_dword v61, v12, s[0:3], 0 offen
	s_cmp_eq_u32 s56, 44
	s_cbranch_scc1 .LBB0_109
.LBB0_153:                              ;   in Loop: Header=BB0_63 Depth=1
	s_lshl_b32 s4, s4, 2
	v_add_u32_e32 v12, s4, v5
	buffer_store_dword v62, v12, s[0:3], 0 offen
	s_and_saveexec_b64 s[8:9], vcc
	s_cbranch_execz .LBB0_157
.LBB0_154:                              ;   in Loop: Header=BB0_63 Depth=1
	s_mov_b64 s[10:11], 0
	s_mov_b64 s[12:13], 0
.LBB0_155:                              ;   Parent Loop BB0_63 Depth=1
                                        ; =>  This Inner Loop Header: Depth=2
	s_cmp_lg_u32 s12, 4
	s_cselect_b64 s[4:5], -1, 0
	s_cmp_lg_u32 s12, 3
	v_cndmask_b32_e64 v10, 0, v10, s[4:5]
	s_cselect_b64 s[4:5], -1, 0
	s_cmp_lg_u32 s12, 2
	v_cndmask_b32_e64 v9, 0, v9, s[4:5]
	;; [unrolled: 3-line block ×4, first 2 shown]
	s_cselect_b64 s[4:5], -1, 0
	s_add_u32 s12, s12, 1
	s_addc_u32 s13, s13, 0
	v_cmp_eq_u32_e64 s[6:7], s12, v19
	s_or_b64 s[10:11], s[6:7], s[10:11]
	v_cndmask_b32_e64 v6, 0, v6, s[4:5]
	s_andn2_b64 exec, exec, s[10:11]
	s_cbranch_execnz .LBB0_155
; %bb.156:                              ;   in Loop: Header=BB0_63 Depth=1
	s_or_b64 exec, exec, s[10:11]
.LBB0_157:                              ;   in Loop: Header=BB0_63 Depth=1
	s_or_b64 exec, exec, s[8:9]
	s_mul_i32 s4, s56, s33
	v_add_u32_e32 v12, s4, v11
	v_ashrrev_i32_e32 v13, 31, v12
	v_lshlrev_b64 v[12:13], 2, v[12:13]
	v_mov_b32_e32 v14, s25
	v_add_co_u32_e64 v12, s[4:5], s24, v12
	v_addc_co_u32_e64 v13, s[4:5], v14, v13, s[4:5]
	s_mov_b32 s57, 0
	s_mov_b64 s[18:19], 0
	s_branch .LBB0_160
.LBB0_158:                              ;   in Loop: Header=BB0_160 Depth=2
	v_ashrrev_i32_e32 v65, 31, v14
	v_mov_b32_e32 v64, v14
	v_lshlrev_b64 v[64:65], 2, v[64:65]
	v_mov_b32_e32 v70, s15
	v_add_co_u32_e64 v66, s[4:5], s14, v64
	v_ashrrev_i32_e32 v69, 31, v15
	v_mov_b32_e32 v68, v15
	v_addc_co_u32_e64 v67, s[4:5], v70, v65, s[4:5]
	v_lshlrev_b64 v[14:15], 2, v[68:69]
	v_add_co_u32_e64 v14, s[4:5], s14, v14
	v_addc_co_u32_e64 v15, s[4:5], v70, v15, s[4:5]
	v_add_co_u32_e64 v64, s[4:5], v14, v64
	v_addc_co_u32_e64 v65, s[4:5], v15, v65, s[4:5]
	global_load_dword v66, v[66:67], off
	s_nop 0
	global_load_dword v14, v[14:15], off
	s_nop 0
	global_load_dword v15, v[64:65], off offset:4
	s_nop 0
	global_load_dword v64, v20, s[14:15] offset:4
	global_load_dword v65, v[12:13], off
	s_add_i32 s57, s57, 1
	s_xor_b64 s[6:7], exec, -1
	s_waitcnt vmcnt(4)
	v_add_f32_e32 v66, 0, v66
	s_waitcnt vmcnt(3)
	v_add_f32_e32 v14, v66, v14
	s_waitcnt vmcnt(2)
	v_sub_f32_e32 v14, v14, v15
	s_waitcnt vmcnt(1)
	v_add_f32_e32 v14, v14, v64
	s_waitcnt vmcnt(0)
	v_add_f32_e32 v14, v65, v14
	global_store_dword v[12:13], v14, off
.LBB0_159:                              ;   in Loop: Header=BB0_160 Depth=2
	s_or_b64 exec, exec, s[20:21]
	s_and_b64 s[4:5], exec, s[6:7]
	s_or_b64 s[18:19], s[4:5], s[18:19]
	s_andn2_b64 exec, exec, s[18:19]
	s_cbranch_execz .LBB0_62
.LBB0_160:                              ;   Parent Loop BB0_63 Depth=1
                                        ; =>  This Loop Header: Depth=2
                                        ;       Child Loop BB0_162 Depth 3
                                        ;       Child Loop BB0_176 Depth 3
	;; [unrolled: 1-line block ×3, first 2 shown]
                                        ;         Child Loop BB0_199 Depth 4
                                        ;         Child Loop BB0_205 Depth 4
	;; [unrolled: 1-line block ×3, first 2 shown]
	v_mov_b32_e32 v14, 1
	s_and_saveexec_b64 s[6:7], vcc
	s_cbranch_execz .LBB0_164
; %bb.161:                              ;   in Loop: Header=BB0_160 Depth=2
	s_mov_b32 s10, 1
	s_mov_b64 s[8:9], 0
	v_mov_b32_e32 v15, v18
.LBB0_162:                              ;   Parent Loop BB0_63 Depth=1
                                        ;     Parent Loop BB0_160 Depth=2
                                        ; =>    This Inner Loop Header: Depth=3
	v_add_u32_e32 v15, -1, v15
	s_lshl_b32 s10, s10, 1
	v_cmp_eq_u32_e64 s[4:5], 0, v15
	s_or_b64 s[8:9], s[4:5], s[8:9]
	v_mov_b32_e32 v14, s10
	s_andn2_b64 exec, exec, s[8:9]
	s_cbranch_execnz .LBB0_162
; %bb.163:                              ;   in Loop: Header=BB0_160 Depth=2
	s_or_b64 exec, exec, s[8:9]
.LBB0_164:                              ;   in Loop: Header=BB0_160 Depth=2
	s_or_b64 exec, exec, s[6:7]
	s_cmp_lg_u32 s57, 0
	v_cmp_lt_u32_e64 s[4:5], s57, v14
	s_cselect_b64 s[6:7], -1, 0
	s_and_b64 s[6:7], s[6:7], s[4:5]
	s_and_saveexec_b64 s[20:21], s[6:7]
	s_cbranch_execz .LBB0_188
; %bb.165:                              ;   in Loop: Header=BB0_160 Depth=2
	v_add_u32_e32 v14, 1, v6
	v_cmp_lt_i32_e64 s[6:7], 0, v6
	v_mov_b32_e32 v6, v14
	s_and_saveexec_b64 s[22:23], s[6:7]
	s_cbranch_execz .LBB0_187
; %bb.166:                              ;   in Loop: Header=BB0_160 Depth=2
	v_mov_b32_e32 v6, s17
	s_mov_b64 s[30:31], 9
	s_mov_b64 s[28:29], 0
                                        ; implicit-def: $sgpr34_sgpr35
	s_branch .LBB0_176
.LBB0_167:                              ;   in Loop: Header=BB0_176 Depth=3
	s_or_b64 exec, exec, s[8:9]
	s_orn2_b64 s[8:9], s[10:11], exec
.LBB0_168:                              ;   in Loop: Header=BB0_176 Depth=3
	s_or_b64 exec, exec, s[50:51]
	s_orn2_b64 s[8:9], s[8:9], exec
.LBB0_169:                              ;   in Loop: Header=BB0_176 Depth=3
	s_or_b64 exec, exec, s[48:49]
	s_orn2_b64 s[8:9], s[8:9], exec
.LBB0_170:                              ;   in Loop: Header=BB0_176 Depth=3
	s_or_b64 exec, exec, s[46:47]
	s_orn2_b64 s[8:9], s[8:9], exec
.LBB0_171:                              ;   in Loop: Header=BB0_176 Depth=3
	s_or_b64 exec, exec, s[44:45]
	s_orn2_b64 s[8:9], s[8:9], exec
.LBB0_172:                              ;   in Loop: Header=BB0_176 Depth=3
	s_or_b64 exec, exec, s[42:43]
	s_orn2_b64 s[8:9], s[8:9], exec
.LBB0_173:                              ;   in Loop: Header=BB0_176 Depth=3
	s_or_b64 exec, exec, s[40:41]
	s_orn2_b64 s[8:9], s[8:9], exec
.LBB0_174:                              ;   in Loop: Header=BB0_176 Depth=3
	s_or_b64 exec, exec, s[38:39]
	s_andn2_b64 s[6:7], s[34:35], exec
	s_and_b64 s[8:9], s[8:9], exec
	s_or_b64 s[34:35], s[6:7], s[8:9]
.LBB0_175:                              ;   in Loop: Header=BB0_176 Depth=3
	s_or_b64 exec, exec, s[36:37]
	s_and_b64 s[6:7], exec, s[34:35]
	s_or_b64 s[28:29], s[6:7], s[28:29]
	s_andn2_b64 exec, exec, s[28:29]
	s_cbranch_execz .LBB0_186
.LBB0_176:                              ;   Parent Loop BB0_63 Depth=1
                                        ;     Parent Loop BB0_160 Depth=2
                                        ; =>    This Inner Loop Header: Depth=3
	s_add_u32 s16, s30, -8
	s_cmp_eq_u32 s16, 1
	s_cselect_b64 s[6:7], -1, 0
	s_cmp_eq_u32 s16, 2
	v_cndmask_b32_e64 v14, v6, v7, s[6:7]
	s_cselect_b64 s[8:9], -1, 0
	s_cmp_eq_u32 s16, 3
	v_cndmask_b32_e64 v14, v14, v8, s[8:9]
	s_cselect_b64 s[10:11], -1, 0
	s_cmp_eq_u32 s16, 4
	v_cndmask_b32_e64 v14, v14, v9, s[10:11]
	s_cselect_b64 s[12:13], -1, 0
	v_cndmask_b32_e64 v14, v14, v10, s[12:13]
	v_add_u32_e32 v15, 1, v14
	s_cmp_eq_u32 s16, 0
	v_cndmask_b32_e64 v7, v7, v15, s[6:7]
	s_cselect_b64 s[6:7], -1, 0
	v_cndmask_b32_e64 v10, v10, v15, s[12:13]
	v_cndmask_b32_e64 v9, v9, v15, s[10:11]
	;; [unrolled: 1-line block ×4, first 2 shown]
	v_cmp_lt_i32_e64 s[6:7], 0, v14
	s_or_b64 s[34:35], s[34:35], exec
	s_and_saveexec_b64 s[36:37], s[6:7]
	s_cbranch_execz .LBB0_175
; %bb.177:                              ;   in Loop: Header=BB0_176 Depth=3
	s_cmp_lg_u32 s16, 4
	s_cselect_b64 s[6:7], -1, 0
	s_cmp_lg_u32 s16, 3
	v_cndmask_b32_e64 v10, 0, v10, s[6:7]
	s_cselect_b64 s[6:7], -1, 0
	s_cmp_lg_u32 s16, 2
	v_cndmask_b32_e64 v9, 0, v9, s[6:7]
	s_cselect_b64 s[6:7], -1, 0
	s_cmp_lg_u32 s16, 1
	v_cndmask_b32_e64 v8, 0, v8, s[6:7]
	s_cselect_b64 s[6:7], -1, 0
	s_cmp_lg_u32 s16, 0
	v_cndmask_b32_e64 v7, 0, v7, s[6:7]
	s_cselect_b64 s[6:7], -1, 0
	s_add_u32 s16, s30, -7
	s_cmp_eq_u32 s16, 1
	v_cndmask_b32_e64 v6, 0, v6, s[6:7]
	s_cselect_b64 s[6:7], -1, 0
	s_cmp_eq_u32 s16, 2
	v_cndmask_b32_e64 v14, v6, v7, s[6:7]
	s_cselect_b64 s[8:9], -1, 0
	s_cmp_eq_u32 s16, 3
	v_cndmask_b32_e64 v14, v14, v8, s[8:9]
	s_cselect_b64 s[10:11], -1, 0
	s_cmp_eq_u32 s16, 4
	v_cndmask_b32_e64 v14, v14, v9, s[10:11]
	s_cselect_b64 s[12:13], -1, 0
	v_cndmask_b32_e64 v14, v14, v10, s[12:13]
	v_add_u32_e32 v15, 1, v14
	s_cmp_eq_u32 s16, 0
	v_cndmask_b32_e64 v7, v7, v15, s[6:7]
	s_cselect_b64 s[6:7], -1, 0
	v_cndmask_b32_e64 v10, v10, v15, s[12:13]
	v_cndmask_b32_e64 v9, v9, v15, s[10:11]
	v_cndmask_b32_e64 v8, v8, v15, s[8:9]
	v_cndmask_b32_e64 v6, v6, v15, s[6:7]
	v_cmp_lt_i32_e64 s[6:7], 0, v14
	s_mov_b64 s[8:9], -1
	s_and_saveexec_b64 s[38:39], s[6:7]
	s_cbranch_execz .LBB0_174
; %bb.178:                              ;   in Loop: Header=BB0_176 Depth=3
	s_cmp_lg_u32 s16, 4
	s_cselect_b64 s[6:7], -1, 0
	s_cmp_lg_u32 s16, 3
	v_cndmask_b32_e64 v10, 0, v10, s[6:7]
	s_cselect_b64 s[6:7], -1, 0
	s_cmp_lg_u32 s16, 2
	v_cndmask_b32_e64 v9, 0, v9, s[6:7]
	s_cselect_b64 s[6:7], -1, 0
	s_cmp_lg_u32 s16, 1
	v_cndmask_b32_e64 v8, 0, v8, s[6:7]
	s_cselect_b64 s[6:7], -1, 0
	s_cmp_lg_u32 s16, 0
	v_cndmask_b32_e64 v7, 0, v7, s[6:7]
	s_cselect_b64 s[6:7], -1, 0
	s_add_u32 s16, s30, -6
	s_cmp_eq_u32 s16, 1
	v_cndmask_b32_e64 v6, 0, v6, s[6:7]
	s_cselect_b64 s[6:7], -1, 0
	s_cmp_eq_u32 s16, 2
	v_cndmask_b32_e64 v14, v6, v7, s[6:7]
	s_cselect_b64 s[8:9], -1, 0
	s_cmp_eq_u32 s16, 3
	v_cndmask_b32_e64 v14, v14, v8, s[8:9]
	s_cselect_b64 s[10:11], -1, 0
	s_cmp_eq_u32 s16, 4
	v_cndmask_b32_e64 v14, v14, v9, s[10:11]
	s_cselect_b64 s[12:13], -1, 0
	v_cndmask_b32_e64 v14, v14, v10, s[12:13]
	v_add_u32_e32 v15, 1, v14
	s_cmp_eq_u32 s16, 0
	v_cndmask_b32_e64 v7, v7, v15, s[6:7]
	s_cselect_b64 s[6:7], -1, 0
	v_cndmask_b32_e64 v10, v10, v15, s[12:13]
	v_cndmask_b32_e64 v9, v9, v15, s[10:11]
	v_cndmask_b32_e64 v8, v8, v15, s[8:9]
	v_cndmask_b32_e64 v6, v6, v15, s[6:7]
	v_cmp_lt_i32_e64 s[6:7], 0, v14
	s_mov_b64 s[8:9], -1
	s_and_saveexec_b64 s[40:41], s[6:7]
	s_cbranch_execz .LBB0_173
; %bb.179:                              ;   in Loop: Header=BB0_176 Depth=3
	s_cmp_lg_u32 s16, 4
	s_cselect_b64 s[6:7], -1, 0
	s_cmp_lg_u32 s16, 3
	v_cndmask_b32_e64 v10, 0, v10, s[6:7]
	s_cselect_b64 s[6:7], -1, 0
	s_cmp_lg_u32 s16, 2
	v_cndmask_b32_e64 v9, 0, v9, s[6:7]
	s_cselect_b64 s[6:7], -1, 0
	s_cmp_lg_u32 s16, 1
	v_cndmask_b32_e64 v8, 0, v8, s[6:7]
	s_cselect_b64 s[6:7], -1, 0
	s_cmp_lg_u32 s16, 0
	v_cndmask_b32_e64 v7, 0, v7, s[6:7]
	s_cselect_b64 s[6:7], -1, 0
	s_add_u32 s16, s30, -5
	s_cmp_eq_u32 s16, 1
	v_cndmask_b32_e64 v6, 0, v6, s[6:7]
	s_cselect_b64 s[6:7], -1, 0
	s_cmp_eq_u32 s16, 2
	v_cndmask_b32_e64 v14, v6, v7, s[6:7]
	s_cselect_b64 s[8:9], -1, 0
	s_cmp_eq_u32 s16, 3
	v_cndmask_b32_e64 v14, v14, v8, s[8:9]
	s_cselect_b64 s[10:11], -1, 0
	s_cmp_eq_u32 s16, 4
	v_cndmask_b32_e64 v14, v14, v9, s[10:11]
	s_cselect_b64 s[12:13], -1, 0
	v_cndmask_b32_e64 v14, v14, v10, s[12:13]
	v_add_u32_e32 v15, 1, v14
	s_cmp_eq_u32 s16, 0
	v_cndmask_b32_e64 v7, v7, v15, s[6:7]
	s_cselect_b64 s[6:7], -1, 0
	v_cndmask_b32_e64 v10, v10, v15, s[12:13]
	v_cndmask_b32_e64 v9, v9, v15, s[10:11]
	v_cndmask_b32_e64 v8, v8, v15, s[8:9]
	v_cndmask_b32_e64 v6, v6, v15, s[6:7]
	v_cmp_lt_i32_e64 s[6:7], 0, v14
	s_mov_b64 s[8:9], -1
	s_and_saveexec_b64 s[42:43], s[6:7]
	s_cbranch_execz .LBB0_172
; %bb.180:                              ;   in Loop: Header=BB0_176 Depth=3
	s_cmp_lg_u32 s16, 4
	s_cselect_b64 s[6:7], -1, 0
	s_cmp_lg_u32 s16, 3
	v_cndmask_b32_e64 v10, 0, v10, s[6:7]
	s_cselect_b64 s[6:7], -1, 0
	s_cmp_lg_u32 s16, 2
	v_cndmask_b32_e64 v9, 0, v9, s[6:7]
	s_cselect_b64 s[6:7], -1, 0
	s_cmp_lg_u32 s16, 1
	v_cndmask_b32_e64 v8, 0, v8, s[6:7]
	s_cselect_b64 s[6:7], -1, 0
	s_cmp_lg_u32 s16, 0
	v_cndmask_b32_e64 v7, 0, v7, s[6:7]
	s_cselect_b64 s[6:7], -1, 0
	s_add_u32 s16, s30, -4
	s_cmp_eq_u32 s16, 1
	v_cndmask_b32_e64 v6, 0, v6, s[6:7]
	s_cselect_b64 s[6:7], -1, 0
	s_cmp_eq_u32 s16, 2
	v_cndmask_b32_e64 v14, v6, v7, s[6:7]
	s_cselect_b64 s[8:9], -1, 0
	s_cmp_eq_u32 s16, 3
	v_cndmask_b32_e64 v14, v14, v8, s[8:9]
	s_cselect_b64 s[10:11], -1, 0
	s_cmp_eq_u32 s16, 4
	v_cndmask_b32_e64 v14, v14, v9, s[10:11]
	s_cselect_b64 s[12:13], -1, 0
	v_cndmask_b32_e64 v14, v14, v10, s[12:13]
	v_add_u32_e32 v15, 1, v14
	s_cmp_eq_u32 s16, 0
	v_cndmask_b32_e64 v7, v7, v15, s[6:7]
	s_cselect_b64 s[6:7], -1, 0
	v_cndmask_b32_e64 v10, v10, v15, s[12:13]
	v_cndmask_b32_e64 v9, v9, v15, s[10:11]
	v_cndmask_b32_e64 v8, v8, v15, s[8:9]
	v_cndmask_b32_e64 v6, v6, v15, s[6:7]
	v_cmp_lt_i32_e64 s[6:7], 0, v14
	s_mov_b64 s[8:9], -1
	s_and_saveexec_b64 s[44:45], s[6:7]
	s_cbranch_execz .LBB0_171
; %bb.181:                              ;   in Loop: Header=BB0_176 Depth=3
	s_cmp_lg_u32 s16, 4
	s_cselect_b64 s[6:7], -1, 0
	s_cmp_lg_u32 s16, 3
	v_cndmask_b32_e64 v10, 0, v10, s[6:7]
	s_cselect_b64 s[6:7], -1, 0
	s_cmp_lg_u32 s16, 2
	v_cndmask_b32_e64 v9, 0, v9, s[6:7]
	s_cselect_b64 s[6:7], -1, 0
	s_cmp_lg_u32 s16, 1
	v_cndmask_b32_e64 v8, 0, v8, s[6:7]
	s_cselect_b64 s[6:7], -1, 0
	s_cmp_lg_u32 s16, 0
	v_cndmask_b32_e64 v7, 0, v7, s[6:7]
	s_cselect_b64 s[6:7], -1, 0
	s_add_u32 s16, s30, -3
	s_cmp_eq_u32 s16, 1
	v_cndmask_b32_e64 v6, 0, v6, s[6:7]
	s_cselect_b64 s[6:7], -1, 0
	s_cmp_eq_u32 s16, 2
	v_cndmask_b32_e64 v14, v6, v7, s[6:7]
	s_cselect_b64 s[8:9], -1, 0
	s_cmp_eq_u32 s16, 3
	v_cndmask_b32_e64 v14, v14, v8, s[8:9]
	s_cselect_b64 s[10:11], -1, 0
	s_cmp_eq_u32 s16, 4
	v_cndmask_b32_e64 v14, v14, v9, s[10:11]
	s_cselect_b64 s[12:13], -1, 0
	v_cndmask_b32_e64 v14, v14, v10, s[12:13]
	v_add_u32_e32 v15, 1, v14
	s_cmp_eq_u32 s16, 0
	v_cndmask_b32_e64 v7, v7, v15, s[6:7]
	s_cselect_b64 s[6:7], -1, 0
	v_cndmask_b32_e64 v10, v10, v15, s[12:13]
	v_cndmask_b32_e64 v9, v9, v15, s[10:11]
	v_cndmask_b32_e64 v8, v8, v15, s[8:9]
	v_cndmask_b32_e64 v6, v6, v15, s[6:7]
	v_cmp_lt_i32_e64 s[6:7], 0, v14
	s_mov_b64 s[8:9], -1
	s_and_saveexec_b64 s[46:47], s[6:7]
	s_cbranch_execz .LBB0_170
; %bb.182:                              ;   in Loop: Header=BB0_176 Depth=3
	s_cmp_lg_u32 s16, 4
	s_cselect_b64 s[6:7], -1, 0
	s_cmp_lg_u32 s16, 3
	v_cndmask_b32_e64 v10, 0, v10, s[6:7]
	s_cselect_b64 s[6:7], -1, 0
	s_cmp_lg_u32 s16, 2
	v_cndmask_b32_e64 v9, 0, v9, s[6:7]
	s_cselect_b64 s[6:7], -1, 0
	s_cmp_lg_u32 s16, 1
	v_cndmask_b32_e64 v8, 0, v8, s[6:7]
	s_cselect_b64 s[6:7], -1, 0
	s_cmp_lg_u32 s16, 0
	v_cndmask_b32_e64 v7, 0, v7, s[6:7]
	s_cselect_b64 s[6:7], -1, 0
	s_add_u32 s16, s30, -2
	s_cmp_eq_u32 s16, 1
	v_cndmask_b32_e64 v6, 0, v6, s[6:7]
	s_cselect_b64 s[6:7], -1, 0
	s_cmp_eq_u32 s16, 2
	v_cndmask_b32_e64 v14, v6, v7, s[6:7]
	s_cselect_b64 s[8:9], -1, 0
	s_cmp_eq_u32 s16, 3
	v_cndmask_b32_e64 v14, v14, v8, s[8:9]
	s_cselect_b64 s[10:11], -1, 0
	s_cmp_eq_u32 s16, 4
	v_cndmask_b32_e64 v14, v14, v9, s[10:11]
	s_cselect_b64 s[12:13], -1, 0
	v_cndmask_b32_e64 v14, v14, v10, s[12:13]
	v_add_u32_e32 v15, 1, v14
	s_cmp_eq_u32 s16, 0
	v_cndmask_b32_e64 v7, v7, v15, s[6:7]
	s_cselect_b64 s[6:7], -1, 0
	v_cndmask_b32_e64 v10, v10, v15, s[12:13]
	v_cndmask_b32_e64 v9, v9, v15, s[10:11]
	v_cndmask_b32_e64 v8, v8, v15, s[8:9]
	v_cndmask_b32_e64 v6, v6, v15, s[6:7]
	v_cmp_lt_i32_e64 s[6:7], 0, v14
	s_mov_b64 s[8:9], -1
	s_and_saveexec_b64 s[48:49], s[6:7]
	s_cbranch_execz .LBB0_169
; %bb.183:                              ;   in Loop: Header=BB0_176 Depth=3
	s_cmp_lg_u32 s16, 4
	s_cselect_b64 s[6:7], -1, 0
	s_cmp_lg_u32 s16, 3
	v_cndmask_b32_e64 v10, 0, v10, s[6:7]
	s_cselect_b64 s[6:7], -1, 0
	s_cmp_lg_u32 s16, 2
	v_cndmask_b32_e64 v9, 0, v9, s[6:7]
	s_cselect_b64 s[6:7], -1, 0
	s_cmp_lg_u32 s16, 1
	v_cndmask_b32_e64 v8, 0, v8, s[6:7]
	s_cselect_b64 s[6:7], -1, 0
	s_cmp_lg_u32 s16, 0
	v_cndmask_b32_e64 v7, 0, v7, s[6:7]
	s_cselect_b64 s[6:7], -1, 0
	s_add_u32 s16, s30, -1
	s_cmp_eq_u32 s16, 1
	v_cndmask_b32_e64 v6, 0, v6, s[6:7]
	s_cselect_b64 s[6:7], -1, 0
	s_cmp_eq_u32 s16, 2
	v_cndmask_b32_e64 v14, v6, v7, s[6:7]
	s_cselect_b64 s[8:9], -1, 0
	s_cmp_eq_u32 s16, 3
	v_cndmask_b32_e64 v14, v14, v8, s[8:9]
	s_cselect_b64 s[10:11], -1, 0
	s_cmp_eq_u32 s16, 4
	v_cndmask_b32_e64 v14, v14, v9, s[10:11]
	s_cselect_b64 s[12:13], -1, 0
	v_cndmask_b32_e64 v14, v14, v10, s[12:13]
	v_add_u32_e32 v15, 1, v14
	s_cmp_eq_u32 s16, 0
	v_cndmask_b32_e64 v7, v7, v15, s[6:7]
	s_cselect_b64 s[6:7], -1, 0
	v_cndmask_b32_e64 v10, v10, v15, s[12:13]
	v_cndmask_b32_e64 v9, v9, v15, s[10:11]
	v_cndmask_b32_e64 v8, v8, v15, s[8:9]
	v_cndmask_b32_e64 v6, v6, v15, s[6:7]
	v_cmp_lt_i32_e64 s[6:7], 0, v14
	s_mov_b64 s[8:9], -1
	s_and_saveexec_b64 s[50:51], s[6:7]
	s_cbranch_execz .LBB0_168
; %bb.184:                              ;   in Loop: Header=BB0_176 Depth=3
	s_cmp_lg_u32 s16, 4
	s_cselect_b64 s[6:7], -1, 0
	s_cmp_lg_u32 s16, 3
	v_cndmask_b32_e64 v10, 0, v10, s[6:7]
	s_cselect_b64 s[6:7], -1, 0
	s_cmp_lg_u32 s16, 2
	v_cndmask_b32_e64 v9, 0, v9, s[6:7]
	;; [unrolled: 3-line block ×4, first 2 shown]
	s_cselect_b64 s[6:7], -1, 0
	s_cmp_eq_u32 s30, 1
	v_cndmask_b32_e64 v6, 0, v6, s[6:7]
	s_cselect_b64 s[6:7], -1, 0
	s_cmp_eq_u32 s30, 2
	v_cndmask_b32_e64 v14, v6, v7, s[6:7]
	;; [unrolled: 3-line block ×4, first 2 shown]
	s_cselect_b64 s[12:13], -1, 0
	v_cndmask_b32_e64 v14, v14, v10, s[12:13]
	v_add_u32_e32 v15, 1, v14
	s_cmp_eq_u32 s30, 0
	v_cndmask_b32_e64 v7, v7, v15, s[6:7]
	s_cselect_b64 s[6:7], -1, 0
	v_cndmask_b32_e64 v10, v10, v15, s[12:13]
	v_cndmask_b32_e64 v9, v9, v15, s[10:11]
	;; [unrolled: 1-line block ×4, first 2 shown]
	v_cmp_lt_i32_e64 s[6:7], 0, v14
	s_mov_b64 s[10:11], -1
	s_and_saveexec_b64 s[8:9], s[6:7]
	s_cbranch_execz .LBB0_167
; %bb.185:                              ;   in Loop: Header=BB0_176 Depth=3
	s_cmp_lg_u32 s30, 4
	s_cselect_b64 s[6:7], -1, 0
	s_cmp_lg_u32 s30, 3
	v_cndmask_b32_e64 v10, 0, v10, s[6:7]
	s_cselect_b64 s[6:7], -1, 0
	s_cmp_lg_u32 s30, 2
	v_cndmask_b32_e64 v9, 0, v9, s[6:7]
	;; [unrolled: 3-line block ×4, first 2 shown]
	s_cselect_b64 s[6:7], -1, 0
	s_add_u32 s30, s30, 9
	s_addc_u32 s31, s31, 0
	s_cmp_eq_u32 s30, 54
	v_cndmask_b32_e64 v6, 0, v6, s[6:7]
	s_cselect_b64 s[6:7], -1, 0
	s_orn2_b64 s[10:11], s[6:7], exec
	s_branch .LBB0_167
.LBB0_186:                              ;   in Loop: Header=BB0_160 Depth=2
	s_or_b64 exec, exec, s[28:29]
.LBB0_187:                              ;   in Loop: Header=BB0_160 Depth=2
	s_or_b64 exec, exec, s[22:23]
.LBB0_188:                              ;   in Loop: Header=BB0_160 Depth=2
	s_or_b64 exec, exec, s[20:21]
	s_mov_b64 s[6:7], -1
	s_and_saveexec_b64 s[20:21], s[4:5]
	s_cbranch_execz .LBB0_159
; %bb.189:                              ;   in Loop: Header=BB0_160 Depth=2
	s_mov_b32 s22, 0
	s_mov_b32 s23, s22
	v_pk_mov_b32 v[14:15], s[22:23], s[22:23] op_sel:[0,1]
	s_branch .LBB0_191
.LBB0_190:                              ;   in Loop: Header=BB0_191 Depth=3
	s_or_b64 exec, exec, s[6:7]
	s_add_i32 s22, s22, 3
	s_cmpk_eq_i32 s22, 0x258
	s_cbranch_scc1 .LBB0_158
.LBB0_191:                              ;   Parent Loop BB0_63 Depth=1
                                        ;     Parent Loop BB0_160 Depth=2
                                        ; =>    This Loop Header: Depth=3
                                        ;         Child Loop BB0_199 Depth 4
                                        ;         Child Loop BB0_205 Depth 4
	;; [unrolled: 1-line block ×3, first 2 shown]
	s_mul_i32 s23, s22, 45
	s_mov_b64 s[4:5], -1
	s_and_saveexec_b64 s[28:29], vcc
	s_cbranch_execnz .LBB0_197
; %bb.192:                              ;   in Loop: Header=BB0_191 Depth=3
	s_or_b64 exec, exec, s[28:29]
	s_and_saveexec_b64 s[6:7], s[4:5]
	s_cbranch_execnz .LBB0_202
.LBB0_193:                              ;   in Loop: Header=BB0_191 Depth=3
	s_or_b64 exec, exec, s[6:7]
	s_mov_b64 s[4:5], -1
	s_and_saveexec_b64 s[28:29], vcc
	s_cbranch_execnz .LBB0_203
.LBB0_194:                              ;   in Loop: Header=BB0_191 Depth=3
	s_or_b64 exec, exec, s[28:29]
	s_and_saveexec_b64 s[6:7], s[4:5]
	s_cbranch_execnz .LBB0_208
.LBB0_195:                              ;   in Loop: Header=BB0_191 Depth=3
	s_or_b64 exec, exec, s[6:7]
	s_mov_b64 s[4:5], -1
	s_and_saveexec_b64 s[28:29], vcc
	s_cbranch_execnz .LBB0_209
.LBB0_196:                              ;   in Loop: Header=BB0_191 Depth=3
	s_or_b64 exec, exec, s[28:29]
	s_and_saveexec_b64 s[6:7], s[4:5]
	s_cbranch_execz .LBB0_190
	s_branch .LBB0_214
.LBB0_197:                              ;   in Loop: Header=BB0_191 Depth=3
	s_mov_b64 s[30:31], 0
	s_mov_b64 s[40:41], 0
                                        ; implicit-def: $sgpr34_sgpr35
                                        ; implicit-def: $sgpr38_sgpr39
                                        ; implicit-def: $sgpr36_sgpr37
	s_branch .LBB0_199
.LBB0_198:                              ;   in Loop: Header=BB0_199 Depth=4
	s_or_b64 exec, exec, s[6:7]
	s_xor_b64 s[4:5], s[36:37], -1
	s_and_b64 s[6:7], exec, s[38:39]
	s_or_b64 s[30:31], s[6:7], s[30:31]
	s_andn2_b64 s[6:7], s[34:35], exec
	s_and_b64 s[4:5], s[4:5], exec
	s_or_b64 s[34:35], s[6:7], s[4:5]
	s_andn2_b64 exec, exec, s[30:31]
	s_cbranch_execz .LBB0_201
.LBB0_199:                              ;   Parent Loop BB0_63 Depth=1
                                        ;     Parent Loop BB0_160 Depth=2
                                        ;       Parent Loop BB0_191 Depth=3
                                        ; =>      This Inner Loop Header: Depth=4
	s_cmp_eq_u32 s40, 1
	s_cselect_b64 s[4:5], -1, 0
	s_cmp_eq_u32 s40, 2
	v_cndmask_b32_e64 v64, v0, v1, s[4:5]
	s_cselect_b64 s[6:7], -1, 0
	s_cmp_eq_u32 s40, 3
	v_cndmask_b32_e64 v64, v64, v2, s[6:7]
	;; [unrolled: 3-line block ×3, first 2 shown]
	s_cselect_b64 s[10:11], -1, 0
	v_cndmask_b32_e64 v64, v64, v4, s[10:11]
	v_lshl_add_u32 v64, v64, 2, v5
	buffer_load_dword v64, v64, s[0:3], 0 offen
	v_mov_b32_e32 v66, s27
	s_or_b64 s[36:37], s[36:37], exec
	s_or_b64 s[38:39], s[38:39], exec
	s_waitcnt vmcnt(0)
	v_add_u32_e32 v64, s23, v64
	v_ashrrev_i32_e32 v65, 31, v64
	v_lshlrev_b64 v[64:65], 2, v[64:65]
	v_add_co_u32_e64 v64, s[12:13], s26, v64
	v_addc_co_u32_e64 v65, s[12:13], v66, v65, s[12:13]
	global_load_dword v64, v[64:65], off
	v_cndmask_b32_e64 v65, v6, v7, s[4:5]
	v_cndmask_b32_e64 v65, v65, v8, s[6:7]
	;; [unrolled: 1-line block ×4, first 2 shown]
	s_waitcnt vmcnt(0)
	v_cmp_eq_u32_e64 s[4:5], v64, v65
	s_and_saveexec_b64 s[6:7], s[4:5]
	s_cbranch_execz .LBB0_198
; %bb.200:                              ;   in Loop: Header=BB0_199 Depth=4
	s_add_u32 s40, s40, 1
	v_cmp_eq_u32_e64 s[4:5], s40, v19
	s_addc_u32 s41, s41, 0
	s_andn2_b64 s[8:9], s[38:39], exec
	s_and_b64 s[4:5], s[4:5], exec
	s_andn2_b64 s[36:37], s[36:37], exec
	s_or_b64 s[38:39], s[8:9], s[4:5]
	s_branch .LBB0_198
.LBB0_201:                              ;   in Loop: Header=BB0_191 Depth=3
	s_or_b64 exec, exec, s[30:31]
	s_orn2_b64 s[4:5], s[34:35], exec
	s_or_b64 exec, exec, s[28:29]
	s_and_saveexec_b64 s[6:7], s[4:5]
	s_cbranch_execz .LBB0_193
.LBB0_202:                              ;   in Loop: Header=BB0_191 Depth=3
	s_add_i32 s16, s23, s56
	s_lshl_b64 s[4:5], s[16:17], 2
	s_add_u32 s4, s26, s4
	s_addc_u32 s5, s27, s5
	s_load_dword s8, s[4:5], 0x0
	s_waitcnt lgkmcnt(0)
	s_cmp_eq_u32 s8, 1
	s_cselect_b64 s[4:5], -1, 0
	v_cndmask_b32_e64 v64, v14, v15, s[4:5]
	s_cmp_eq_u32 s8, 0
	v_add_u32_e32 v64, 1, v64
	v_cndmask_b32_e64 v15, v15, v64, s[4:5]
	s_cselect_b64 s[4:5], -1, 0
	v_cndmask_b32_e64 v14, v14, v64, s[4:5]
	s_or_b64 exec, exec, s[6:7]
	s_mov_b64 s[4:5], -1
	s_and_saveexec_b64 s[28:29], vcc
	s_cbranch_execz .LBB0_194
.LBB0_203:                              ;   in Loop: Header=BB0_191 Depth=3
	s_add_i32 s16, s23, 45
	s_mov_b64 s[30:31], 0
	s_mov_b64 s[40:41], 0
                                        ; implicit-def: $sgpr34_sgpr35
                                        ; implicit-def: $sgpr38_sgpr39
                                        ; implicit-def: $sgpr36_sgpr37
	s_branch .LBB0_205
.LBB0_204:                              ;   in Loop: Header=BB0_205 Depth=4
	s_or_b64 exec, exec, s[6:7]
	s_xor_b64 s[4:5], s[36:37], -1
	s_and_b64 s[6:7], exec, s[38:39]
	s_or_b64 s[30:31], s[6:7], s[30:31]
	s_andn2_b64 s[6:7], s[34:35], exec
	s_and_b64 s[4:5], s[4:5], exec
	s_or_b64 s[34:35], s[6:7], s[4:5]
	s_andn2_b64 exec, exec, s[30:31]
	s_cbranch_execz .LBB0_207
.LBB0_205:                              ;   Parent Loop BB0_63 Depth=1
                                        ;     Parent Loop BB0_160 Depth=2
                                        ;       Parent Loop BB0_191 Depth=3
                                        ; =>      This Inner Loop Header: Depth=4
	s_cmp_eq_u32 s40, 1
	s_cselect_b64 s[4:5], -1, 0
	s_cmp_eq_u32 s40, 2
	v_cndmask_b32_e64 v64, v0, v1, s[4:5]
	s_cselect_b64 s[6:7], -1, 0
	s_cmp_eq_u32 s40, 3
	v_cndmask_b32_e64 v64, v64, v2, s[6:7]
	;; [unrolled: 3-line block ×3, first 2 shown]
	s_cselect_b64 s[10:11], -1, 0
	v_cndmask_b32_e64 v64, v64, v4, s[10:11]
	v_lshl_add_u32 v64, v64, 2, v5
	buffer_load_dword v64, v64, s[0:3], 0 offen
	v_mov_b32_e32 v66, s27
	s_or_b64 s[36:37], s[36:37], exec
	s_or_b64 s[38:39], s[38:39], exec
	s_waitcnt vmcnt(0)
	v_add_u32_e32 v64, s16, v64
	v_ashrrev_i32_e32 v65, 31, v64
	v_lshlrev_b64 v[64:65], 2, v[64:65]
	v_add_co_u32_e64 v64, s[12:13], s26, v64
	v_addc_co_u32_e64 v65, s[12:13], v66, v65, s[12:13]
	global_load_dword v64, v[64:65], off
	v_cndmask_b32_e64 v65, v6, v7, s[4:5]
	v_cndmask_b32_e64 v65, v65, v8, s[6:7]
	;; [unrolled: 1-line block ×4, first 2 shown]
	s_waitcnt vmcnt(0)
	v_cmp_eq_u32_e64 s[4:5], v64, v65
	s_and_saveexec_b64 s[6:7], s[4:5]
	s_cbranch_execz .LBB0_204
; %bb.206:                              ;   in Loop: Header=BB0_205 Depth=4
	s_add_u32 s40, s40, 1
	v_cmp_eq_u32_e64 s[4:5], s40, v19
	s_addc_u32 s41, s41, 0
	s_andn2_b64 s[8:9], s[38:39], exec
	s_and_b64 s[4:5], s[4:5], exec
	s_andn2_b64 s[36:37], s[36:37], exec
	s_or_b64 s[38:39], s[8:9], s[4:5]
	s_branch .LBB0_204
.LBB0_207:                              ;   in Loop: Header=BB0_191 Depth=3
	s_or_b64 exec, exec, s[30:31]
	s_orn2_b64 s[4:5], s[34:35], exec
	s_or_b64 exec, exec, s[28:29]
	s_and_saveexec_b64 s[6:7], s[4:5]
	s_cbranch_execz .LBB0_195
.LBB0_208:                              ;   in Loop: Header=BB0_191 Depth=3
	s_add_u32 s4, s23, s56
	s_addc_u32 s5, 0, 0
	s_lshl_b64 s[4:5], s[4:5], 2
	s_add_u32 s4, s52, s4
	s_addc_u32 s5, s53, s5
	s_load_dword s8, s[4:5], 0x0
	s_waitcnt lgkmcnt(0)
	s_cmp_eq_u32 s8, 1
	s_cselect_b64 s[4:5], -1, 0
	v_cndmask_b32_e64 v64, v14, v15, s[4:5]
	s_cmp_eq_u32 s8, 0
	v_add_u32_e32 v64, 1, v64
	v_cndmask_b32_e64 v15, v15, v64, s[4:5]
	s_cselect_b64 s[4:5], -1, 0
	v_cndmask_b32_e64 v14, v14, v64, s[4:5]
	s_or_b64 exec, exec, s[6:7]
	s_mov_b64 s[4:5], -1
	s_and_saveexec_b64 s[28:29], vcc
	s_cbranch_execz .LBB0_196
.LBB0_209:                              ;   in Loop: Header=BB0_191 Depth=3
	s_add_i32 s16, s23, 0x5a
	s_mov_b64 s[30:31], 0
	s_mov_b64 s[40:41], 0
                                        ; implicit-def: $sgpr34_sgpr35
                                        ; implicit-def: $sgpr38_sgpr39
                                        ; implicit-def: $sgpr36_sgpr37
	s_branch .LBB0_211
.LBB0_210:                              ;   in Loop: Header=BB0_211 Depth=4
	s_or_b64 exec, exec, s[6:7]
	s_xor_b64 s[4:5], s[36:37], -1
	s_and_b64 s[6:7], exec, s[38:39]
	s_or_b64 s[30:31], s[6:7], s[30:31]
	s_andn2_b64 s[6:7], s[34:35], exec
	s_and_b64 s[4:5], s[4:5], exec
	s_or_b64 s[34:35], s[6:7], s[4:5]
	s_andn2_b64 exec, exec, s[30:31]
	s_cbranch_execz .LBB0_213
.LBB0_211:                              ;   Parent Loop BB0_63 Depth=1
                                        ;     Parent Loop BB0_160 Depth=2
                                        ;       Parent Loop BB0_191 Depth=3
                                        ; =>      This Inner Loop Header: Depth=4
	s_cmp_eq_u32 s40, 1
	s_cselect_b64 s[4:5], -1, 0
	s_cmp_eq_u32 s40, 2
	v_cndmask_b32_e64 v64, v0, v1, s[4:5]
	s_cselect_b64 s[6:7], -1, 0
	s_cmp_eq_u32 s40, 3
	v_cndmask_b32_e64 v64, v64, v2, s[6:7]
	;; [unrolled: 3-line block ×3, first 2 shown]
	s_cselect_b64 s[10:11], -1, 0
	v_cndmask_b32_e64 v64, v64, v4, s[10:11]
	v_lshl_add_u32 v64, v64, 2, v5
	buffer_load_dword v64, v64, s[0:3], 0 offen
	v_mov_b32_e32 v66, s27
	s_or_b64 s[36:37], s[36:37], exec
	s_or_b64 s[38:39], s[38:39], exec
	s_waitcnt vmcnt(0)
	v_add_u32_e32 v64, s16, v64
	v_ashrrev_i32_e32 v65, 31, v64
	v_lshlrev_b64 v[64:65], 2, v[64:65]
	v_add_co_u32_e64 v64, s[12:13], s26, v64
	v_addc_co_u32_e64 v65, s[12:13], v66, v65, s[12:13]
	global_load_dword v64, v[64:65], off
	v_cndmask_b32_e64 v65, v6, v7, s[4:5]
	v_cndmask_b32_e64 v65, v65, v8, s[6:7]
	;; [unrolled: 1-line block ×4, first 2 shown]
	s_waitcnt vmcnt(0)
	v_cmp_eq_u32_e64 s[4:5], v64, v65
	s_and_saveexec_b64 s[6:7], s[4:5]
	s_cbranch_execz .LBB0_210
; %bb.212:                              ;   in Loop: Header=BB0_211 Depth=4
	s_add_u32 s40, s40, 1
	v_cmp_eq_u32_e64 s[4:5], s40, v19
	s_addc_u32 s41, s41, 0
	s_andn2_b64 s[8:9], s[38:39], exec
	s_and_b64 s[4:5], s[4:5], exec
	s_andn2_b64 s[36:37], s[36:37], exec
	s_or_b64 s[38:39], s[8:9], s[4:5]
	s_branch .LBB0_210
.LBB0_213:                              ;   in Loop: Header=BB0_191 Depth=3
	s_or_b64 exec, exec, s[30:31]
	s_orn2_b64 s[4:5], s[34:35], exec
	s_or_b64 exec, exec, s[28:29]
	s_and_saveexec_b64 s[6:7], s[4:5]
	s_cbranch_execz .LBB0_190
.LBB0_214:                              ;   in Loop: Header=BB0_191 Depth=3
	s_add_u32 s4, s23, s56
	s_addc_u32 s5, 0, 0
	s_lshl_b64 s[4:5], s[4:5], 2
	s_add_u32 s4, s54, s4
	s_addc_u32 s5, s55, s5
	s_load_dword s8, s[4:5], 0x0
	s_waitcnt lgkmcnt(0)
	s_cmp_eq_u32 s8, 1
	s_cselect_b64 s[4:5], -1, 0
	v_cndmask_b32_e64 v64, v14, v15, s[4:5]
	s_cmp_eq_u32 s8, 0
	v_add_u32_e32 v64, 1, v64
	v_cndmask_b32_e64 v15, v15, v64, s[4:5]
	s_cselect_b64 s[4:5], -1, 0
	v_cndmask_b32_e64 v14, v14, v64, s[4:5]
	s_branch .LBB0_190
.LBB0_215:
	s_endpgm
	.section	.rodata,"a",@progbits
	.p2align	6, 0x0
	.amdhsa_kernel _Z14genScoreKerneliPfPKiPKf
		.amdhsa_group_segment_fixed_size 0
		.amdhsa_private_segment_fixed_size 192
		.amdhsa_kernarg_size 32
		.amdhsa_user_sgpr_count 8
		.amdhsa_user_sgpr_private_segment_buffer 1
		.amdhsa_user_sgpr_dispatch_ptr 0
		.amdhsa_user_sgpr_queue_ptr 0
		.amdhsa_user_sgpr_kernarg_segment_ptr 1
		.amdhsa_user_sgpr_dispatch_id 0
		.amdhsa_user_sgpr_flat_scratch_init 1
		.amdhsa_user_sgpr_kernarg_preload_length 0
		.amdhsa_user_sgpr_kernarg_preload_offset 0
		.amdhsa_user_sgpr_private_segment_size 0
		.amdhsa_uses_dynamic_stack 0
		.amdhsa_system_sgpr_private_segment_wavefront_offset 1
		.amdhsa_system_sgpr_workgroup_id_x 1
		.amdhsa_system_sgpr_workgroup_id_y 0
		.amdhsa_system_sgpr_workgroup_id_z 0
		.amdhsa_system_sgpr_workgroup_info 0
		.amdhsa_system_vgpr_workitem_id 0
		.amdhsa_next_free_vgpr 71
		.amdhsa_next_free_sgpr 58
		.amdhsa_accum_offset 72
		.amdhsa_reserve_vcc 1
		.amdhsa_reserve_flat_scratch 0
		.amdhsa_float_round_mode_32 0
		.amdhsa_float_round_mode_16_64 0
		.amdhsa_float_denorm_mode_32 3
		.amdhsa_float_denorm_mode_16_64 3
		.amdhsa_dx10_clamp 1
		.amdhsa_ieee_mode 1
		.amdhsa_fp16_overflow 0
		.amdhsa_tg_split 0
		.amdhsa_exception_fp_ieee_invalid_op 0
		.amdhsa_exception_fp_denorm_src 0
		.amdhsa_exception_fp_ieee_div_zero 0
		.amdhsa_exception_fp_ieee_overflow 0
		.amdhsa_exception_fp_ieee_underflow 0
		.amdhsa_exception_fp_ieee_inexact 0
		.amdhsa_exception_int_div_zero 0
	.end_amdhsa_kernel
	.text
.Lfunc_end0:
	.size	_Z14genScoreKerneliPfPKiPKf, .Lfunc_end0-_Z14genScoreKerneliPfPKiPKf
                                        ; -- End function
	.section	.AMDGPU.csdata,"",@progbits
; Kernel info:
; codeLenInByte = 8404
; NumSgprs: 62
; NumVgprs: 71
; NumAgprs: 0
; TotalNumVgprs: 71
; ScratchSize: 192
; MemoryBound: 0
; FloatMode: 240
; IeeeMode: 1
; LDSByteSize: 0 bytes/workgroup (compile time only)
; SGPRBlocks: 7
; VGPRBlocks: 8
; NumSGPRsForWavesPerEU: 62
; NumVGPRsForWavesPerEU: 71
; AccumOffset: 72
; Occupancy: 7
; WaveLimiterHint : 0
; COMPUTE_PGM_RSRC2:SCRATCH_EN: 1
; COMPUTE_PGM_RSRC2:USER_SGPR: 8
; COMPUTE_PGM_RSRC2:TRAP_HANDLER: 0
; COMPUTE_PGM_RSRC2:TGID_X_EN: 1
; COMPUTE_PGM_RSRC2:TGID_Y_EN: 0
; COMPUTE_PGM_RSRC2:TGID_Z_EN: 0
; COMPUTE_PGM_RSRC2:TIDIG_COMP_CNT: 0
; COMPUTE_PGM_RSRC3_GFX90A:ACCUM_OFFSET: 17
; COMPUTE_PGM_RSRC3_GFX90A:TG_SPLIT: 0
	.text
	.protected	_Z13computeKerneliiPKfPKbiiPfPi ; -- Begin function _Z13computeKerneliiPKfPKbiiPfPi
	.globl	_Z13computeKerneliiPKfPKbiiPfPi
	.p2align	8
	.type	_Z13computeKerneliiPKfPKbiiPfPi,@function
_Z13computeKerneliiPKfPKbiiPfPi:        ; @_Z13computeKerneliiPKfPKbiiPfPi
; %bb.0:
	s_load_dwordx4 s[16:19], s[4:5], 0x8
	v_mov_b32_e32 v1, 0
	s_add_u32 s0, s0, s9
	s_addc_u32 s1, s1, 0
	s_getpc_b64 s[6:7]
	s_add_u32 s6, s6, __const._Z13computeKerneliiPKfPKbiiPfPi.parent@rel32@lo+4
	s_addc_u32 s7, s7, __const._Z13computeKerneliiPKfPKbiiPfPi.parent@rel32@hi+12
	s_waitcnt lgkmcnt(0)
	global_load_ubyte v3, v1, s[18:19]
	s_load_dwordx4 s[12:15], s[6:7], 0x0
	buffer_store_dword v1, off, s[0:3], 0 offset:172
	buffer_store_dword v1, off, s[0:3], 0 offset:168
	buffer_store_dword v1, off, s[0:3], 0 offset:164
	buffer_store_dword v1, off, s[0:3], 0 offset:160
	buffer_store_dword v1, off, s[0:3], 0 offset:156
	buffer_store_dword v1, off, s[0:3], 0 offset:152
	buffer_store_dword v1, off, s[0:3], 0 offset:148
	buffer_store_dword v1, off, s[0:3], 0 offset:144
	buffer_store_dword v1, off, s[0:3], 0 offset:140
	buffer_store_dword v1, off, s[0:3], 0 offset:136
	buffer_store_dword v1, off, s[0:3], 0 offset:132
	buffer_store_dword v1, off, s[0:3], 0 offset:128
	buffer_store_dword v1, off, s[0:3], 0 offset:124
	buffer_store_dword v1, off, s[0:3], 0 offset:120
	buffer_store_dword v1, off, s[0:3], 0 offset:116
	buffer_store_dword v1, off, s[0:3], 0 offset:112
	buffer_store_dword v1, off, s[0:3], 0 offset:108
	buffer_store_dword v1, off, s[0:3], 0 offset:104
	buffer_store_dword v1, off, s[0:3], 0 offset:100
	buffer_store_dword v1, off, s[0:3], 0 offset:96
	buffer_store_dword v1, off, s[0:3], 0 offset:92
	buffer_store_dword v1, off, s[0:3], 0 offset:88
	buffer_store_dword v1, off, s[0:3], 0 offset:84
	buffer_store_dword v1, off, s[0:3], 0 offset:80
	buffer_store_dword v1, off, s[0:3], 0 offset:76
	buffer_store_dword v1, off, s[0:3], 0 offset:72
	buffer_store_dword v1, off, s[0:3], 0 offset:68
	buffer_store_dword v1, off, s[0:3], 0 offset:64
	buffer_store_dword v1, off, s[0:3], 0 offset:60
	buffer_store_dword v1, off, s[0:3], 0 offset:56
	buffer_store_dword v1, off, s[0:3], 0 offset:52
	buffer_store_dword v1, off, s[0:3], 0 offset:48
	buffer_store_dword v1, off, s[0:3], 0 offset:44
	buffer_store_dword v1, off, s[0:3], 0 offset:40
	buffer_store_dword v1, off, s[0:3], 0 offset:36
	buffer_store_dword v1, off, s[0:3], 0 offset:32
	buffer_store_dword v1, off, s[0:3], 0 offset:28
	buffer_store_dword v1, off, s[0:3], 0 offset:24
	buffer_store_dword v1, off, s[0:3], 0 offset:20
	buffer_store_dword v1, off, s[0:3], 0 offset:16
	buffer_store_dword v1, off, s[0:3], 0 offset:12
	buffer_store_dword v1, off, s[0:3], 0 offset:8
	buffer_store_dword v1, off, s[0:3], 0 offset:4
	buffer_store_dword v1, off, s[0:3], 0
	buffer_store_dword v1, off, s[0:3], 0 offset:176
	s_waitcnt lgkmcnt(0)
	v_mov_b32_e32 v2, s15
	buffer_store_dword v2, off, s[0:3], 0 offset:204
	v_mov_b32_e32 v2, s14
	buffer_store_dword v2, off, s[0:3], 0 offset:200
	;; [unrolled: 2-line block ×4, first 2 shown]
	buffer_store_dword v1, off, s[0:3], 0 offset:208
	v_mov_b32_e32 v2, 0
	s_waitcnt vmcnt(50)
	v_readfirstlane_b32 s6, v3
	s_bitcmp1_b32 s6, 0
	s_cselect_b64 s[6:7], -1, 0
	s_and_b64 vcc, exec, s[6:7]
	s_cbranch_vccz .LBB1_2
; %bb.1:
	v_or_b32_e32 v2, 8, v2
	s_mov_b32 s14, 2
	buffer_store_dword v1, off, s[0:3], 0 offset:4
	global_load_ubyte v1, v1, s[18:19] offset:1
	s_waitcnt vmcnt(0)
	v_cmp_eq_u32_e32 vcc, 0, v1
	s_cbranch_vccz .LBB1_3
	s_branch .LBB1_4
.LBB1_2:
	v_or_b32_e32 v2, 4, v2
	s_mov_b32 s14, 1
	global_load_ubyte v1, v1, s[18:19] offset:1
	s_waitcnt vmcnt(0)
	v_cmp_eq_u32_e32 vcc, 0, v1
	s_cbranch_vccnz .LBB1_4
.LBB1_3:
	v_mov_b32_e32 v1, 1
	s_add_i32 s14, s14, 1
	buffer_store_dword v1, v2, s[0:3], 0 offen
.LBB1_4:
	v_mov_b32_e32 v1, 0
	global_load_ubyte v2, v1, s[18:19] offset:2
	s_waitcnt vmcnt(0)
	v_cmp_eq_u32_e32 vcc, 0, v2
	s_cbranch_vccnz .LBB1_6
; %bb.5:
	s_lshl_b32 s6, s14, 2
	v_mov_b32_e32 v2, 0
	v_add_u32_e32 v2, s6, v2
	s_add_i32 s14, s14, 1
	v_mov_b32_e32 v3, 2
	buffer_store_dword v3, v2, s[0:3], 0 offen
.LBB1_6:
	global_load_ubyte v1, v1, s[18:19] offset:3
	s_waitcnt vmcnt(0)
	v_cmp_eq_u32_e32 vcc, 0, v1
	s_cbranch_vccnz .LBB1_8
; %bb.7:
	s_lshl_b32 s6, s14, 2
	v_mov_b32_e32 v1, 0
	v_add_u32_e32 v1, s6, v1
	s_add_i32 s14, s14, 1
	v_mov_b32_e32 v2, 3
	buffer_store_dword v2, v1, s[0:3], 0 offen
.LBB1_8:
	v_mov_b32_e32 v1, 0
	global_load_ubyte v2, v1, s[18:19] offset:4
	s_waitcnt vmcnt(0)
	v_cmp_eq_u32_e32 vcc, 0, v2
	s_cbranch_vccnz .LBB1_10
; %bb.9:
	s_lshl_b32 s6, s14, 2
	v_mov_b32_e32 v2, 0
	v_add_u32_e32 v2, s6, v2
	s_add_i32 s14, s14, 1
	v_mov_b32_e32 v3, 4
	buffer_store_dword v3, v2, s[0:3], 0 offen
.LBB1_10:
	global_load_ubyte v1, v1, s[18:19] offset:5
	s_waitcnt vmcnt(0)
	v_cmp_eq_u32_e32 vcc, 0, v1
	s_cbranch_vccnz .LBB1_12
; %bb.11:
	s_lshl_b32 s6, s14, 2
	v_mov_b32_e32 v1, 0
	v_add_u32_e32 v1, s6, v1
	s_add_i32 s14, s14, 1
	v_mov_b32_e32 v2, 5
	buffer_store_dword v2, v1, s[0:3], 0 offen
.LBB1_12:
	;; [unrolled: 25-line block ×21, first 2 shown]
	v_mov_b32_e32 v5, 0
	global_load_ubyte v1, v5, s[18:19] offset:44
	s_waitcnt vmcnt(0)
	v_cmp_eq_u32_e32 vcc, 0, v1
	s_cbranch_vccnz .LBB1_90
; %bb.89:
	s_lshl_b32 s6, s14, 2
	v_mov_b32_e32 v1, 0
	v_add_u32_e32 v1, s6, v1
	s_add_i32 s14, s14, 1
	v_mov_b32_e32 v2, 44
	buffer_store_dword v2, v1, s[0:3], 0 offen
.LBB1_90:
	s_load_dwordx2 s[18:19], s[4:5], 0x0
	s_mov_b32 s9, 0
	s_waitcnt lgkmcnt(0)
	s_cmp_gt_i32 s18, 0
	s_cbranch_scc0 .LBB1_209
; %bb.91:
	s_load_dwordx2 s[20:21], s[4:5], 0x18
	v_lshl_add_u32 v1, s8, 8, v0
	v_mov_b32_e32 v14, 0xc0
	v_mul_lo_u32 v13, v1, s18
	v_or_b32_e32 v15, 4, v14
	v_or_b32_e32 v16, 8, v14
	;; [unrolled: 1-line block ×3, first 2 shown]
	v_add_u32_e32 v18, 16, v14
	s_waitcnt lgkmcnt(0)
	s_mul_i32 s19, s20, s19
	s_add_i32 s15, s14, -1
	v_add_u32_e32 v19, -4, v14
	s_mov_b64 s[22:23], 0
	v_mov_b32_e32 v12, 0xd8635fa9
	v_mov_b32_e32 v2, 0
	v_mov_b32_e32 v20, -1
	v_mov_b32_e32 v21, 0
	v_mov_b32_e32 v22, 0
	;; [unrolled: 1-line block ×5, first 2 shown]
                                        ; implicit-def: $sgpr24_sgpr25
	s_branch .LBB1_94
.LBB1_92:                               ;   in Loop: Header=BB1_94 Depth=1
	s_or_b64 exec, exec, s[6:7]
	v_add_u32_e32 v6, s19, v6
	v_ashrrev_i32_e32 v7, 31, v6
	v_lshlrev_b64 v[6:7], 2, v[6:7]
	v_mov_b32_e32 v1, s17
	v_add_co_u32_e32 v6, vcc, s16, v6
	v_addc_co_u32_e32 v7, vcc, v1, v7, vcc
	global_load_dword v1, v[6:7], off
	s_nop 0
	buffer_load_dword v6, off, s[0:3], 0 offset:196
	buffer_load_dword v7, off, s[0:3], 0 offset:200
	;; [unrolled: 1-line block ×4, first 2 shown]
	s_add_i32 s9, s9, 1
	s_cmp_eq_u32 s9, s18
	s_cselect_b64 s[6:7], -1, 0
	s_andn2_b64 s[10:11], s[24:25], exec
	s_and_b64 s[6:7], s[6:7], exec
	s_or_b64 s[24:25], s[10:11], s[6:7]
	s_waitcnt vmcnt(4)
	v_cmp_gt_f32_e32 vcc, v1, v12
	s_waitcnt vmcnt(3)
	v_cndmask_b32_e32 v2, v2, v6, vcc
	s_waitcnt vmcnt(2)
	v_cndmask_b32_e32 v3, v3, v7, vcc
	;; [unrolled: 2-line block ×4, first 2 shown]
	v_cndmask_b32_e32 v12, v12, v1, vcc
.LBB1_93:                               ;   in Loop: Header=BB1_94 Depth=1
	s_or_b64 exec, exec, s[26:27]
	s_and_b64 s[6:7], exec, s[24:25]
	s_or_b64 s[22:23], s[6:7], s[22:23]
	s_andn2_b64 exec, exec, s[22:23]
	s_cbranch_execz .LBB1_208
.LBB1_94:                               ; =>This Loop Header: Depth=1
                                        ;     Child Loop BB1_98 Depth 2
                                        ;       Child Loop BB1_100 Depth 3
                                        ;       Child Loop BB1_103 Depth 3
	;; [unrolled: 1-line block ×3, first 2 shown]
                                        ;     Child Loop BB1_111 Depth 2
                                        ;     Child Loop BB1_115 Depth 2
	;; [unrolled: 1-line block ×4, first 2 shown]
                                        ;       Child Loop BB1_126 Depth 3
                                        ;         Child Loop BB1_128 Depth 4
                                        ;         Child Loop BB1_132 Depth 4
	;; [unrolled: 1-line block ×3, first 2 shown]
                                        ;       Child Loop BB1_140 Depth 3
                                        ;       Child Loop BB1_144 Depth 3
                                        ;       Child Loop BB1_147 Depth 3
                                        ;     Child Loop BB1_153 Depth 2
                                        ;     Child Loop BB1_170 Depth 2
	;; [unrolled: 1-line block ×3, first 2 shown]
                                        ;       Child Loop BB1_175 Depth 3
                                        ;       Child Loop BB1_178 Depth 3
	;; [unrolled: 1-line block ×3, first 2 shown]
                                        ;     Child Loop BB1_187 Depth 2
                                        ;       Child Loop BB1_190 Depth 3
                                        ;         Child Loop BB1_193 Depth 4
                                        ;         Child Loop BB1_197 Depth 4
	;; [unrolled: 1-line block ×3, first 2 shown]
	v_add_u32_e32 v10, s9, v13
	v_cmp_gt_u32_e32 vcc, s21, v10
	s_or_b64 s[24:25], s[24:25], exec
	s_and_saveexec_b64 s[26:27], vcc
	s_cbranch_execz .LBB1_93
; %bb.95:                               ;   in Loop: Header=BB1_94 Depth=1
	v_cmp_ne_u32_e32 vcc, 0, v10
	s_and_saveexec_b64 s[6:7], vcc
	s_xor_b64 s[12:13], exec, s[6:7]
	s_cbranch_execz .LBB1_158
; %bb.96:                               ;   in Loop: Header=BB1_94 Depth=1
	s_mov_b32 s30, 0
	v_cmp_lt_i32_e32 vcc, 0, v10
	v_mov_b32_e32 v1, 1
	v_mov_b32_e32 v11, 0
	s_and_saveexec_b64 s[6:7], vcc
	s_cbranch_execz .LBB1_108
; %bb.97:                               ;   in Loop: Header=BB1_94 Depth=1
	s_mov_b32 s31, 1
	s_mov_b64 s[10:11], 0
.LBB1_98:                               ;   Parent Loop BB1_94 Depth=1
                                        ; =>  This Loop Header: Depth=2
                                        ;       Child Loop BB1_100 Depth 3
                                        ;       Child Loop BB1_103 Depth 3
	;; [unrolled: 1-line block ×3, first 2 shown]
	s_cmp_lt_u32 s31, 4
	s_cbranch_scc1 .LBB1_102
; %bb.99:                               ;   in Loop: Header=BB1_98 Depth=2
	s_and_b32 s34, s31, -4
	s_mov_b32 s33, 1
	s_mov_b64 s[28:29], s[14:15]
	s_mov_b32 s36, 1
	s_mov_b32 s37, 1
	;; [unrolled: 1-line block ×3, first 2 shown]
.LBB1_100:                              ;   Parent Loop BB1_94 Depth=1
                                        ;     Parent Loop BB1_98 Depth=2
                                        ; =>    This Inner Loop Header: Depth=3
	s_add_i32 s35, s28, -2
	s_add_i32 s39, s29, -2
	s_mul_i32 s36, s36, s29
	s_mul_i32 s33, s33, s28
	s_add_i32 s29, s29, -4
	s_add_i32 s28, s28, -4
	s_add_i32 s34, s34, -4
	s_mul_i32 s38, s38, s39
	s_cmp_lg_u32 s34, 0
	s_mul_i32 s37, s37, s35
	s_cbranch_scc1 .LBB1_100
; %bb.101:                              ;   in Loop: Header=BB1_98 Depth=2
	s_and_b32 s34, s31, 0x7ffffffc
	s_sub_i32 s35, s14, s34
	s_mul_i32 s28, s38, s36
	s_mul_i32 s29, s37, s33
	s_cmp_lg_u32 s31, s34
	s_mul_i32 s33, s29, s28
	s_cselect_b64 s[28:29], -1, 0
	s_and_b64 vcc, exec, s[28:29]
	s_cbranch_vccnz .LBB1_103
	s_branch .LBB1_104
.LBB1_102:                              ;   in Loop: Header=BB1_98 Depth=2
	s_mov_b32 s34, 0
	s_mov_b32 s33, 1
	;; [unrolled: 1-line block ×3, first 2 shown]
	s_cbranch_execz .LBB1_104
.LBB1_103:                              ;   Parent Loop BB1_94 Depth=1
                                        ;     Parent Loop BB1_98 Depth=2
                                        ; =>    This Inner Loop Header: Depth=3
	s_mul_i32 s33, s33, s35
	s_add_i32 s35, s35, -1
	s_add_i32 s34, s34, 1
	s_cmp_lg_u32 s31, s34
	s_cbranch_scc1 .LBB1_103
.LBB1_104:                              ;   in Loop: Header=BB1_98 Depth=2
	s_mov_b32 s28, s31
.LBB1_105:                              ;   Parent Loop BB1_94 Depth=1
                                        ;     Parent Loop BB1_98 Depth=2
                                        ; =>    This Inner Loop Header: Depth=3
	s_abs_i32 s34, s28
	v_cvt_f32_u32_e32 v1, s34
	s_sub_i32 s35, 0, s34
	s_xor_b32 s29, s33, s28
	s_abs_i32 s33, s33
	v_rcp_iflag_f32_e32 v1, v1
	s_ashr_i32 s29, s29, 31
	v_mul_f32_e32 v1, 0x4f7ffffe, v1
	v_cvt_u32_f32_e32 v1, v1
	v_readfirstlane_b32 s36, v1
	s_mul_i32 s35, s35, s36
	s_mul_hi_u32 s35, s36, s35
	s_add_i32 s36, s36, s35
	s_mul_hi_u32 s35, s33, s36
	s_mul_i32 s36, s35, s34
	s_sub_i32 s33, s33, s36
	s_add_i32 s37, s35, 1
	s_sub_i32 s36, s33, s34
	s_cmp_ge_u32 s33, s34
	s_cselect_b32 s35, s37, s35
	s_cselect_b32 s33, s36, s33
	s_add_i32 s36, s35, 1
	s_cmp_ge_u32 s33, s34
	s_cselect_b32 s33, s36, s35
	s_xor_b32 s33, s33, s29
	s_add_i32 s28, s28, -1
	s_sub_i32 s33, s33, s29
	s_cmp_lg_u32 s28, 0
	s_cbranch_scc1 .LBB1_105
; %bb.106:                              ;   in Loop: Header=BB1_98 Depth=2
	s_add_i32 s30, s33, s30
	s_add_i32 s31, s31, 1
	v_cmp_ge_i32_e32 vcc, s30, v10
	s_or_b64 s[10:11], vcc, s[10:11]
	v_mov_b32_e32 v1, s31
	v_mov_b32_e32 v11, s30
	s_andn2_b64 exec, exec, s[10:11]
	s_cbranch_execnz .LBB1_98
; %bb.107:                              ;   in Loop: Header=BB1_94 Depth=1
	s_or_b64 exec, exec, s[10:11]
.LBB1_108:                              ;   in Loop: Header=BB1_94 Depth=1
	s_or_b64 exec, exec, s[6:7]
	v_add_u32_e32 v23, -1, v1
	v_cmp_lt_u32_e32 vcc, 1, v1
	v_mov_b32_e32 v6, 1
	s_and_saveexec_b64 s[10:11], vcc
	s_cbranch_execz .LBB1_118
; %bb.109:                              ;   in Loop: Header=BB1_94 Depth=1
	v_cmp_lt_u32_e64 s[6:7], 4, v1
	s_mov_b64 s[30:31], -1
	v_mov_b32_e32 v24, 0
	v_mov_b32_e32 v6, 1
	;; [unrolled: 1-line block ×3, first 2 shown]
	s_and_saveexec_b64 s[28:29], s[6:7]
	s_cbranch_execz .LBB1_113
; %bb.110:                              ;   in Loop: Header=BB1_94 Depth=1
	v_and_b32_e32 v24, -4, v23
	s_mov_b32 s34, 1
	s_mov_b64 s[30:31], 0
	v_mov_b32_e32 v25, v24
	s_mov_b64 s[36:37], s[14:15]
	s_mov_b32 s35, s34
	s_mov_b32 s38, s34
	;; [unrolled: 1-line block ×3, first 2 shown]
.LBB1_111:                              ;   Parent Loop BB1_94 Depth=1
                                        ; =>  This Inner Loop Header: Depth=2
	s_add_i32 s6, s36, -2
	s_add_i32 s7, s37, -2
	v_add_u32_e32 v25, -4, v25
	s_mul_i32 s35, s35, s37
	s_mul_i32 s34, s34, s36
	s_add_i32 s37, s37, -4
	s_add_i32 s36, s36, -4
	s_mul_i32 s39, s39, s7
	s_mul_i32 s38, s38, s6
	v_cmp_eq_u32_e64 s[6:7], 0, v25
	v_pk_mov_b32 v[6:7], s[34:35], s[34:35] op_sel:[0,1]
	s_or_b64 s[30:31], s[6:7], s[30:31]
	v_pk_mov_b32 v[8:9], s[38:39], s[38:39] op_sel:[0,1]
	s_andn2_b64 exec, exec, s[30:31]
	s_cbranch_execnz .LBB1_111
; %bb.112:                              ;   in Loop: Header=BB1_94 Depth=1
	s_or_b64 exec, exec, s[30:31]
	v_mul_lo_u32 v7, v9, v7
	v_mul_lo_u32 v6, v8, v6
	v_cmp_ne_u32_e64 s[6:7], v23, v24
	v_sub_u32_e32 v25, s14, v24
	v_mul_lo_u32 v6, v6, v7
	s_orn2_b64 s[30:31], s[6:7], exec
.LBB1_113:                              ;   in Loop: Header=BB1_94 Depth=1
	s_or_b64 exec, exec, s[28:29]
	s_and_saveexec_b64 s[28:29], s[30:31]
	s_cbranch_execz .LBB1_117
; %bb.114:                              ;   in Loop: Header=BB1_94 Depth=1
	v_sub_u32_e32 v7, v23, v24
	s_mov_b64 s[30:31], 0
.LBB1_115:                              ;   Parent Loop BB1_94 Depth=1
                                        ; =>  This Inner Loop Header: Depth=2
	v_add_u32_e32 v7, -1, v7
	v_cmp_eq_u32_e64 s[6:7], 0, v7
	v_mul_lo_u32 v6, v6, v25
	s_or_b64 s[30:31], s[6:7], s[30:31]
	v_add_u32_e32 v25, -1, v25
	s_andn2_b64 exec, exec, s[30:31]
	s_cbranch_execnz .LBB1_115
; %bb.116:                              ;   in Loop: Header=BB1_94 Depth=1
	s_or_b64 exec, exec, s[30:31]
.LBB1_117:                              ;   in Loop: Header=BB1_94 Depth=1
	s_or_b64 exec, exec, s[28:29]
.LBB1_118:                              ;   in Loop: Header=BB1_94 Depth=1
	s_or_b64 exec, exec, s[10:11]
	s_and_saveexec_b64 s[6:7], vcc
	s_cbranch_execz .LBB1_122
; %bb.119:                              ;   in Loop: Header=BB1_94 Depth=1
	s_mov_b64 s[10:11], 0
	v_mov_b32_e32 v7, v23
.LBB1_120:                              ;   Parent Loop BB1_94 Depth=1
                                        ; =>  This Inner Loop Header: Depth=2
	v_sub_u32_e32 v9, 0, v6
	v_sub_u32_e32 v24, 0, v7
	v_xor_b32_e32 v8, v6, v7
	v_max_i32_e32 v6, v6, v9
	v_max_i32_e32 v9, v7, v24
	v_cvt_f32_u32_e32 v24, v9
	v_sub_u32_e32 v25, 0, v9
	v_add_u32_e32 v7, -1, v7
	v_cmp_eq_u32_e32 vcc, 0, v7
	v_rcp_iflag_f32_e32 v24, v24
	s_or_b64 s[10:11], vcc, s[10:11]
	v_ashrrev_i32_e32 v8, 31, v8
	v_mul_f32_e32 v24, 0x4f7ffffe, v24
	v_cvt_u32_f32_e32 v24, v24
	v_mul_lo_u32 v25, v25, v24
	v_mul_hi_u32 v25, v24, v25
	v_add_u32_e32 v24, v24, v25
	v_mul_hi_u32 v24, v6, v24
	v_mul_lo_u32 v25, v24, v9
	v_sub_u32_e32 v6, v6, v25
	v_add_u32_e32 v26, 1, v24
	v_cmp_ge_u32_e32 vcc, v6, v9
	v_sub_u32_e32 v25, v6, v9
	v_cndmask_b32_e32 v24, v24, v26, vcc
	v_cndmask_b32_e32 v6, v6, v25, vcc
	v_add_u32_e32 v25, 1, v24
	v_cmp_ge_u32_e32 vcc, v6, v9
	v_cndmask_b32_e32 v6, v24, v25, vcc
	v_xor_b32_e32 v6, v6, v8
	v_sub_u32_e32 v6, v6, v8
	s_andn2_b64 exec, exec, s[10:11]
	s_cbranch_execnz .LBB1_120
; %bb.121:                              ;   in Loop: Header=BB1_94 Depth=1
	s_or_b64 exec, exec, s[10:11]
.LBB1_122:                              ;   in Loop: Header=BB1_94 Depth=1
	s_or_b64 exec, exec, s[6:7]
	v_sub_u32_e32 v7, v10, v11
	v_add_u32_e32 v24, v6, v7
	v_cmp_lt_i32_e32 vcc, 2, v1
	s_mov_b32 s33, 0
	v_mov_b32_e32 v25, 0
	v_mov_b32_e32 v26, 0
	s_and_saveexec_b64 s[28:29], vcc
	s_cbranch_execz .LBB1_150
; %bb.123:                              ;   in Loop: Header=BB1_94 Depth=1
	v_add_u32_e32 v25, -2, v1
	s_mov_b64 s[30:31], 0
	v_mov_b32_e32 v26, 0
	v_mov_b32_e32 v6, s14
	;; [unrolled: 1-line block ×3, first 2 shown]
.LBB1_124:                              ;   Parent Loop BB1_94 Depth=1
                                        ; =>  This Loop Header: Depth=2
                                        ;       Child Loop BB1_126 Depth 3
                                        ;         Child Loop BB1_128 Depth 4
                                        ;         Child Loop BB1_132 Depth 4
	;; [unrolled: 1-line block ×3, first 2 shown]
                                        ;       Child Loop BB1_140 Depth 3
                                        ;       Child Loop BB1_144 Depth 3
	;; [unrolled: 1-line block ×3, first 2 shown]
	v_subrev_u32_e32 v30, s33, v25
	v_and_b32_e32 v31, -4, v27
	v_cmp_lt_i32_e32 vcc, 0, v24
	v_add_u32_e32 v23, -1, v23
	v_and_b32_e32 v29, -4, v30
	v_mov_b32_e32 v10, 0
	v_mov_b32_e32 v28, 0
	s_and_saveexec_b64 s[34:35], vcc
	s_cbranch_execz .LBB1_138
; %bb.125:                              ;   in Loop: Header=BB1_124 Depth=2
	v_and_b32_e32 v7, -4, v30
	v_cmp_lt_u32_e32 vcc, 3, v30
	v_cmp_ne_u32_e64 s[6:7], v30, v7
	s_mov_b32 s42, 1
	s_mov_b64 s[36:37], 0
	v_mov_b32_e32 v28, 0
.LBB1_126:                              ;   Parent Loop BB1_94 Depth=1
                                        ;     Parent Loop BB1_124 Depth=2
                                        ; =>    This Loop Header: Depth=3
                                        ;         Child Loop BB1_128 Depth 4
                                        ;         Child Loop BB1_132 Depth 4
	;; [unrolled: 1-line block ×3, first 2 shown]
	v_subrev_u32_e32 v8, s42, v6
	s_mov_b64 s[10:11], -1
	v_mov_b32_e32 v9, 1
	v_mov_b32_e32 v10, 0
	s_and_saveexec_b64 s[38:39], vcc
	s_cbranch_execz .LBB1_130
; %bb.127:                              ;   in Loop: Header=BB1_126 Depth=3
	v_add_u32_e32 v9, -1, v8
	s_mov_b64 s[40:41], 0
	v_mov_b32_e32 v32, 1
	v_mov_b32_e32 v34, v31
	v_pk_mov_b32 v[10:11], v[8:9], v[8:9] op_sel:[0,1]
	v_mov_b32_e32 v9, 1
	v_mov_b32_e32 v33, 1
	;; [unrolled: 1-line block ×3, first 2 shown]
.LBB1_128:                              ;   Parent Loop BB1_94 Depth=1
                                        ;     Parent Loop BB1_124 Depth=2
                                        ;       Parent Loop BB1_126 Depth=3
                                        ; =>      This Inner Loop Header: Depth=4
	v_add_u32_e32 v34, -4, v34
	v_add_u32_e32 v36, -2, v10
	;; [unrolled: 1-line block ×3, first 2 shown]
	v_cmp_eq_u32_e64 s[10:11], 0, v34
	v_mul_lo_u32 v9, v9, v11
	v_mul_lo_u32 v32, v32, v10
	v_add_u32_e32 v11, -4, v11
	v_add_u32_e32 v10, -4, v10
	v_mul_lo_u32 v35, v35, v37
	s_or_b64 s[40:41], s[10:11], s[40:41]
	v_mul_lo_u32 v33, v33, v36
	s_andn2_b64 exec, exec, s[40:41]
	s_cbranch_execnz .LBB1_128
; %bb.129:                              ;   in Loop: Header=BB1_126 Depth=3
	s_or_b64 exec, exec, s[40:41]
	v_mul_lo_u32 v9, v35, v9
	v_mul_lo_u32 v10, v33, v32
	v_sub_u32_e32 v8, v8, v7
	v_mul_lo_u32 v9, v10, v9
	s_orn2_b64 s[10:11], s[6:7], exec
	v_mov_b32_e32 v10, v7
.LBB1_130:                              ;   in Loop: Header=BB1_126 Depth=3
	s_or_b64 exec, exec, s[38:39]
	s_and_saveexec_b64 s[38:39], s[10:11]
	s_cbranch_execz .LBB1_134
; %bb.131:                              ;   in Loop: Header=BB1_126 Depth=3
	s_mov_b64 s[40:41], 0
.LBB1_132:                              ;   Parent Loop BB1_94 Depth=1
                                        ;     Parent Loop BB1_124 Depth=2
                                        ;       Parent Loop BB1_126 Depth=3
                                        ; =>      This Inner Loop Header: Depth=4
	v_add_u32_e32 v10, 1, v10
	v_cmp_eq_u32_e64 s[10:11], v27, v10
	v_mul_lo_u32 v9, v9, v8
	s_or_b64 s[40:41], s[10:11], s[40:41]
	v_add_u32_e32 v8, -1, v8
	s_andn2_b64 exec, exec, s[40:41]
	s_cbranch_execnz .LBB1_132
; %bb.133:                              ;   in Loop: Header=BB1_126 Depth=3
	s_or_b64 exec, exec, s[40:41]
.LBB1_134:                              ;   in Loop: Header=BB1_126 Depth=3
	s_or_b64 exec, exec, s[38:39]
	s_mov_b64 s[38:39], 0
	v_mov_b32_e32 v8, v23
.LBB1_135:                              ;   Parent Loop BB1_94 Depth=1
                                        ;     Parent Loop BB1_124 Depth=2
                                        ;       Parent Loop BB1_126 Depth=3
                                        ; =>      This Inner Loop Header: Depth=4
	v_sub_u32_e32 v11, 0, v9
	v_sub_u32_e32 v32, 0, v8
	v_xor_b32_e32 v10, v9, v8
	v_max_i32_e32 v9, v9, v11
	v_max_i32_e32 v11, v8, v32
	v_cvt_f32_u32_e32 v32, v11
	v_sub_u32_e32 v33, 0, v11
	v_add_u32_e32 v8, -1, v8
	v_cmp_eq_u32_e64 s[10:11], 0, v8
	v_rcp_iflag_f32_e32 v32, v32
	s_or_b64 s[38:39], s[10:11], s[38:39]
	v_ashrrev_i32_e32 v10, 31, v10
	v_mul_f32_e32 v32, 0x4f7ffffe, v32
	v_cvt_u32_f32_e32 v32, v32
	v_mul_lo_u32 v33, v33, v32
	v_mul_hi_u32 v33, v32, v33
	v_add_u32_e32 v32, v32, v33
	v_mul_hi_u32 v32, v9, v32
	v_mul_lo_u32 v33, v32, v11
	v_sub_u32_e32 v9, v9, v33
	v_add_u32_e32 v34, 1, v32
	v_cmp_ge_u32_e64 s[10:11], v9, v11
	v_sub_u32_e32 v33, v9, v11
	v_cndmask_b32_e64 v32, v32, v34, s[10:11]
	v_cndmask_b32_e64 v9, v9, v33, s[10:11]
	v_add_u32_e32 v33, 1, v32
	v_cmp_ge_u32_e64 s[10:11], v9, v11
	v_cndmask_b32_e64 v9, v32, v33, s[10:11]
	v_xor_b32_e32 v9, v9, v10
	v_sub_u32_e32 v9, v9, v10
	s_andn2_b64 exec, exec, s[38:39]
	s_cbranch_execnz .LBB1_135
; %bb.136:                              ;   in Loop: Header=BB1_126 Depth=3
	s_or_b64 exec, exec, s[38:39]
	v_add_u32_e32 v28, v9, v28
	s_add_i32 s38, s42, 1
	v_cmp_ge_i32_e64 s[10:11], v28, v24
	s_or_b64 s[36:37], s[10:11], s[36:37]
	v_mov_b32_e32 v10, s42
	s_mov_b32 s42, s38
	s_andn2_b64 exec, exec, s[36:37]
	s_cbranch_execnz .LBB1_126
; %bb.137:                              ;   in Loop: Header=BB1_124 Depth=2
	s_or_b64 exec, exec, s[36:37]
.LBB1_138:                              ;   in Loop: Header=BB1_124 Depth=2
	s_or_b64 exec, exec, s[34:35]
	v_sub_u32_e32 v6, v6, v10
	v_cmp_lt_u32_e32 vcc, 3, v30
	s_mov_b64 s[10:11], -1
	v_mov_b32_e32 v9, 0
	v_mov_b32_e32 v7, 1
	;; [unrolled: 1-line block ×3, first 2 shown]
	s_and_saveexec_b64 s[6:7], vcc
	s_cbranch_execz .LBB1_142
; %bb.139:                              ;   in Loop: Header=BB1_124 Depth=2
	v_add_u32_e32 v7, -1, v6
	s_mov_b64 s[10:11], 0
	v_mov_b32_e32 v11, 1
	v_pk_mov_b32 v[8:9], v[6:7], v[6:7] op_sel:[0,1]
	v_mov_b32_e32 v7, 1
	v_mov_b32_e32 v32, 1
	;; [unrolled: 1-line block ×3, first 2 shown]
.LBB1_140:                              ;   Parent Loop BB1_94 Depth=1
                                        ;     Parent Loop BB1_124 Depth=2
                                        ; =>    This Inner Loop Header: Depth=3
	v_add_u32_e32 v31, -4, v31
	v_add_u32_e32 v34, -2, v8
	;; [unrolled: 1-line block ×3, first 2 shown]
	v_cmp_eq_u32_e32 vcc, 0, v31
	v_mul_lo_u32 v7, v7, v9
	v_mul_lo_u32 v11, v11, v8
	v_add_u32_e32 v9, -4, v9
	v_add_u32_e32 v8, -4, v8
	v_mul_lo_u32 v33, v33, v35
	s_or_b64 s[10:11], vcc, s[10:11]
	v_mul_lo_u32 v32, v32, v34
	s_andn2_b64 exec, exec, s[10:11]
	s_cbranch_execnz .LBB1_140
; %bb.141:                              ;   in Loop: Header=BB1_124 Depth=2
	s_or_b64 exec, exec, s[10:11]
	v_mul_lo_u32 v7, v33, v7
	v_mul_lo_u32 v9, v32, v11
	v_cmp_ne_u32_e32 vcc, v30, v29
	v_sub_u32_e32 v8, v6, v29
	v_mul_lo_u32 v7, v9, v7
	s_orn2_b64 s[10:11], vcc, exec
	v_mov_b32_e32 v9, v29
.LBB1_142:                              ;   in Loop: Header=BB1_124 Depth=2
	s_or_b64 exec, exec, s[6:7]
	s_and_saveexec_b64 s[6:7], s[10:11]
	s_cbranch_execz .LBB1_146
; %bb.143:                              ;   in Loop: Header=BB1_124 Depth=2
	s_mov_b64 s[10:11], 0
.LBB1_144:                              ;   Parent Loop BB1_94 Depth=1
                                        ;     Parent Loop BB1_124 Depth=2
                                        ; =>    This Inner Loop Header: Depth=3
	v_add_u32_e32 v9, 1, v9
	v_cmp_eq_u32_e32 vcc, v27, v9
	v_mul_lo_u32 v7, v7, v8
	s_or_b64 s[10:11], vcc, s[10:11]
	v_add_u32_e32 v8, -1, v8
	s_andn2_b64 exec, exec, s[10:11]
	s_cbranch_execnz .LBB1_144
; %bb.145:                              ;   in Loop: Header=BB1_124 Depth=2
	s_or_b64 exec, exec, s[10:11]
.LBB1_146:                              ;   in Loop: Header=BB1_124 Depth=2
	s_or_b64 exec, exec, s[6:7]
	s_mov_b64 s[6:7], 0
	v_mov_b32_e32 v8, v23
.LBB1_147:                              ;   Parent Loop BB1_94 Depth=1
                                        ;     Parent Loop BB1_124 Depth=2
                                        ; =>    This Inner Loop Header: Depth=3
	v_sub_u32_e32 v11, 0, v7
	v_sub_u32_e32 v29, 0, v8
	v_xor_b32_e32 v9, v7, v8
	v_max_i32_e32 v7, v7, v11
	v_max_i32_e32 v11, v8, v29
	v_cvt_f32_u32_e32 v29, v11
	v_sub_u32_e32 v30, 0, v11
	v_add_u32_e32 v8, -1, v8
	v_cmp_eq_u32_e32 vcc, 0, v8
	v_rcp_iflag_f32_e32 v29, v29
	s_or_b64 s[6:7], vcc, s[6:7]
	v_ashrrev_i32_e32 v9, 31, v9
	v_mul_f32_e32 v29, 0x4f7ffffe, v29
	v_cvt_u32_f32_e32 v29, v29
	v_mul_lo_u32 v30, v30, v29
	v_mul_hi_u32 v30, v29, v30
	v_add_u32_e32 v29, v29, v30
	v_mul_hi_u32 v29, v7, v29
	v_mul_lo_u32 v30, v29, v11
	v_sub_u32_e32 v7, v7, v30
	v_add_u32_e32 v31, 1, v29
	v_cmp_ge_u32_e32 vcc, v7, v11
	v_sub_u32_e32 v30, v7, v11
	v_cndmask_b32_e32 v29, v29, v31, vcc
	v_cndmask_b32_e32 v7, v7, v30, vcc
	v_add_u32_e32 v30, 1, v29
	v_cmp_ge_u32_e32 vcc, v7, v11
	v_cndmask_b32_e32 v7, v29, v30, vcc
	v_xor_b32_e32 v7, v7, v9
	v_sub_u32_e32 v7, v7, v9
	s_andn2_b64 exec, exec, s[6:7]
	s_cbranch_execnz .LBB1_147
; %bb.148:                              ;   in Loop: Header=BB1_124 Depth=2
	s_or_b64 exec, exec, s[6:7]
	s_add_i32 s6, s33, 1
	v_sub_u32_e32 v8, v24, v28
	s_lshl_b32 s7, s33, 2
	v_cmp_eq_u32_e32 vcc, s6, v25
	v_add_u32_e32 v24, v7, v8
	v_add_u32_e32 v26, v10, v26
	;; [unrolled: 1-line block ×3, first 2 shown]
	v_add_u32_e32 v27, -1, v27
	s_or_b64 s[30:31], vcc, s[30:31]
	s_mov_b32 s33, s6
	buffer_store_dword v26, v7, s[0:3], 0 offen
	s_andn2_b64 exec, exec, s[30:31]
	s_cbranch_execnz .LBB1_124
; %bb.149:                              ;   in Loop: Header=BB1_94 Depth=1
	s_or_b64 exec, exec, s[30:31]
.LBB1_150:                              ;   in Loop: Header=BB1_94 Depth=1
	s_or_b64 exec, exec, s[28:29]
	v_add_u32_e32 v6, v26, v24
	v_lshl_add_u32 v8, v25, 2, v14
	v_cmp_gt_u32_e32 vcc, 3, v25
	buffer_store_dword v6, v8, s[0:3], 0 offen
	s_and_saveexec_b64 s[10:11], vcc
	s_cbranch_execz .LBB1_157
; %bb.151:                              ;   in Loop: Header=BB1_94 Depth=1
	v_max_i32_e32 v1, 2, v1
	v_sub_u32_e32 v6, 6, v1
	v_and_b32_e32 v7, -2, v6
	v_sub_u32_e32 v6, 4, v1
	v_mov_b32_e32 v1, v6
	v_add_u32_e32 v8, 4, v8
	s_mov_b32 s33, 0
	s_mov_b64 s[28:29], 0
	s_branch .LBB1_153
.LBB1_152:                              ;   in Loop: Header=BB1_153 Depth=2
	s_or_b64 exec, exec, s[6:7]
	s_add_i32 s33, s33, 2
	v_cmp_eq_u32_e32 vcc, s33, v7
	s_or_b64 s[28:29], vcc, s[28:29]
	v_add_u32_e32 v8, 8, v8
	s_andn2_b64 exec, exec, s[28:29]
	s_cbranch_execz .LBB1_157
.LBB1_153:                              ;   Parent Loop BB1_94 Depth=1
                                        ; =>  This Inner Loop Header: Depth=2
	s_or_b32 s6, s33, 1
	v_cmp_le_u32_e32 vcc, s6, v1
	v_cmp_le_u32_e64 s[6:7], s33, v6
	s_and_saveexec_b64 s[30:31], s[6:7]
	s_cbranch_execz .LBB1_155
; %bb.154:                              ;   in Loop: Header=BB1_153 Depth=2
	buffer_store_dword v20, v8, s[0:3], 0 offen
.LBB1_155:                              ;   in Loop: Header=BB1_153 Depth=2
	s_or_b64 exec, exec, s[30:31]
	s_and_saveexec_b64 s[6:7], vcc
	s_cbranch_execz .LBB1_152
; %bb.156:                              ;   in Loop: Header=BB1_153 Depth=2
	buffer_store_dword v20, v8, s[0:3], 0 offen offset:4
	s_branch .LBB1_152
.LBB1_157:                              ;   in Loop: Header=BB1_94 Depth=1
	s_or_b64 exec, exec, s[10:11]
.LBB1_158:                              ;   in Loop: Header=BB1_94 Depth=1
	s_andn2_saveexec_b64 s[6:7], s[12:13]
	s_cbranch_execz .LBB1_160
; %bb.159:                              ;   in Loop: Header=BB1_94 Depth=1
	buffer_store_dword v20, off, s[0:3], 0 offset:196
	buffer_store_dword v20, off, s[0:3], 0 offset:192
	;; [unrolled: 1-line block ×4, first 2 shown]
.LBB1_160:                              ;   in Loop: Header=BB1_94 Depth=1
	s_or_b64 exec, exec, s[6:7]
	buffer_load_dword v6, off, s[0:3], 0 offset:192
	v_mov_b32_e32 v10, 0xc0
	s_mov_b64 s[6:7], 0
	v_mov_b32_e32 v1, 0
	s_waitcnt vmcnt(0)
	v_cmp_lt_i32_e32 vcc, -1, v6
	s_and_saveexec_b64 s[10:11], vcc
	s_cbranch_execz .LBB1_168
; %bb.161:                              ;   in Loop: Header=BB1_94 Depth=1
	v_lshl_add_u32 v1, v6, 2, v21
	buffer_load_dword v7, v1, s[0:3], 0 offen
	buffer_load_dword v6, off, s[0:3], 0 offset:196
	s_mov_b64 s[28:29], -1
	v_mov_b32_e32 v1, 1
	v_mov_b32_e32 v10, v15
	s_waitcnt vmcnt(1)
	v_cmp_ge_i32_e64 s[6:7], s20, v7
	v_addc_co_u32_e64 v7, s[6:7], 0, v7, s[6:7]
	s_waitcnt vmcnt(0)
	v_cmp_lt_i32_e64 s[6:7], -1, v6
	buffer_store_dword v7, off, s[0:3], 0 offset:192
	s_and_saveexec_b64 s[12:13], s[6:7]
	s_cbranch_execz .LBB1_167
; %bb.162:                              ;   in Loop: Header=BB1_94 Depth=1
	v_lshl_add_u32 v1, v6, 2, v21
	buffer_load_dword v7, v1, s[0:3], 0 offen
	buffer_load_dword v6, off, s[0:3], 0 offset:200
	v_mov_b32_e32 v1, 2
	v_mov_b32_e32 v10, v16
	s_waitcnt vmcnt(1)
	v_cmp_ge_i32_e64 s[6:7], s20, v7
	v_addc_co_u32_e64 v7, s[6:7], 0, v7, s[6:7]
	s_waitcnt vmcnt(0)
	v_cmp_lt_i32_e64 s[6:7], -1, v6
	buffer_store_dword v7, off, s[0:3], 0 offset:196
	s_and_saveexec_b64 s[28:29], s[6:7]
	s_cbranch_execz .LBB1_166
; %bb.163:                              ;   in Loop: Header=BB1_94 Depth=1
	v_lshl_add_u32 v1, v6, 2, v21
	buffer_load_dword v7, v1, s[0:3], 0 offen
	buffer_load_dword v6, off, s[0:3], 0 offset:204
	v_mov_b32_e32 v1, 3
	v_mov_b32_e32 v10, v17
	s_waitcnt vmcnt(1)
	v_cmp_ge_i32_e64 s[6:7], s20, v7
	v_addc_co_u32_e64 v7, s[6:7], 0, v7, s[6:7]
	s_waitcnt vmcnt(0)
	v_cmp_lt_i32_e64 s[6:7], -1, v6
	buffer_store_dword v7, off, s[0:3], 0 offset:200
	s_and_saveexec_b64 s[30:31], s[6:7]
	s_cbranch_execz .LBB1_165
; %bb.164:                              ;   in Loop: Header=BB1_94 Depth=1
	v_lshl_add_u32 v1, v6, 2, v21
	buffer_load_dword v6, v1, s[0:3], 0 offen
	v_mov_b32_e32 v1, 4
	v_mov_b32_e32 v10, v18
	s_waitcnt vmcnt(0)
	v_cmp_ge_i32_e64 s[6:7], s20, v6
	v_addc_co_u32_e64 v6, s[6:7], 0, v6, s[6:7]
	buffer_store_dword v6, off, s[0:3], 0 offset:204
.LBB1_165:                              ;   in Loop: Header=BB1_94 Depth=1
	s_or_b64 exec, exec, s[30:31]
.LBB1_166:                              ;   in Loop: Header=BB1_94 Depth=1
	s_or_b64 exec, exec, s[28:29]
	s_xor_b64 s[28:29], exec, -1
.LBB1_167:                              ;   in Loop: Header=BB1_94 Depth=1
	s_or_b64 exec, exec, s[12:13]
	s_and_b64 s[6:7], s[28:29], exec
.LBB1_168:                              ;   in Loop: Header=BB1_94 Depth=1
	s_or_b64 exec, exec, s[10:11]
                                        ; implicit-def: $vgpr6
	s_and_saveexec_b64 s[10:11], vcc
	s_xor_b64 s[28:29], exec, s[10:11]
	s_cbranch_execz .LBB1_204
; %bb.169:                              ;   in Loop: Header=BB1_94 Depth=1
	s_xor_b64 s[6:7], s[6:7], -1
	v_add_u32_e32 v6, 1, v1
	v_lshl_add_u32 v7, v1, 2, v19
	s_mov_b64 s[10:11], 0
.LBB1_170:                              ;   Parent Loop BB1_94 Depth=1
                                        ; =>  This Inner Loop Header: Depth=2
	buffer_load_dword v8, v7, s[0:3], 0 offen
	v_add_u32_e32 v6, -1, v6
	v_cmp_gt_u32_e32 vcc, 2, v6
	s_or_b64 s[10:11], vcc, s[10:11]
	s_waitcnt vmcnt(0)
	buffer_store_dword v8, v7, s[0:3], 0 offen offset:4
	v_add_u32_e32 v7, -4, v7
	s_andn2_b64 exec, exec, s[10:11]
	s_cbranch_execnz .LBB1_170
; %bb.171:                              ;   in Loop: Header=BB1_94 Depth=1
	s_or_b64 exec, exec, s[10:11]
	v_mov_b32_e32 v11, 0
	buffer_store_dword v22, off, s[0:3], 0 offset:192
	s_and_saveexec_b64 s[10:11], s[6:7]
	s_cbranch_execz .LBB1_183
; %bb.172:                              ;   in Loop: Header=BB1_94 Depth=1
	s_mov_b32 s33, 1
	s_mov_b32 s34, 0
	s_mov_b64 s[12:13], 0
.LBB1_173:                              ;   Parent Loop BB1_94 Depth=1
                                        ; =>  This Loop Header: Depth=2
                                        ;       Child Loop BB1_175 Depth 3
                                        ;       Child Loop BB1_178 Depth 3
                                        ;       Child Loop BB1_180 Depth 3
	s_cmp_gt_u32 s33, 3
	s_cbranch_scc0 .LBB1_177
; %bb.174:                              ;   in Loop: Header=BB1_173 Depth=2
	s_and_b32 s31, s33, -4
	s_mov_b32 s30, 1
	s_mov_b32 s35, 43
	;; [unrolled: 1-line block ×6, first 2 shown]
.LBB1_175:                              ;   Parent Loop BB1_94 Depth=1
                                        ;     Parent Loop BB1_173 Depth=2
                                        ; =>    This Inner Loop Header: Depth=3
	s_add_i32 s37, s36, -2
	s_add_i32 s41, s35, -2
	s_mul_i32 s38, s38, s35
	s_mul_i32 s30, s30, s36
	s_add_i32 s36, s36, -4
	s_add_i32 s35, s35, -4
	;; [unrolled: 1-line block ×3, first 2 shown]
	s_mul_i32 s40, s40, s41
	s_cmp_lg_u32 s31, 0
	s_mul_i32 s39, s39, s37
	s_cbranch_scc1 .LBB1_175
; %bb.176:                              ;   in Loop: Header=BB1_173 Depth=2
	s_and_b32 s37, s33, 0x7ffffffc
	s_sub_i32 s36, 44, s37
	s_mul_i32 s31, s40, s38
	s_mul_i32 s30, s39, s30
	s_cmp_lg_u32 s33, s37
	s_mul_i32 s35, s30, s31
	s_cselect_b64 s[30:31], -1, 0
	s_and_b64 vcc, exec, s[30:31]
	s_cbranch_vccnz .LBB1_178
	s_branch .LBB1_179
.LBB1_177:                              ;   in Loop: Header=BB1_173 Depth=2
	s_mov_b32 s36, 44
	s_mov_b32 s37, 0
	;; [unrolled: 1-line block ×3, first 2 shown]
	s_cbranch_execz .LBB1_179
.LBB1_178:                              ;   Parent Loop BB1_94 Depth=1
                                        ;     Parent Loop BB1_173 Depth=2
                                        ; =>    This Inner Loop Header: Depth=3
	s_mul_i32 s35, s35, s36
	s_add_i32 s36, s36, -1
	s_add_i32 s37, s37, 1
	s_cmp_lg_u32 s33, s37
	s_cbranch_scc1 .LBB1_178
.LBB1_179:                              ;   in Loop: Header=BB1_173 Depth=2
	s_mov_b32 s30, s33
.LBB1_180:                              ;   Parent Loop BB1_94 Depth=1
                                        ;     Parent Loop BB1_173 Depth=2
                                        ; =>    This Inner Loop Header: Depth=3
	s_abs_i32 s36, s30
	v_cvt_f32_u32_e32 v6, s36
	s_sub_i32 s37, 0, s36
	s_xor_b32 s31, s35, s30
	s_abs_i32 s35, s35
	v_rcp_iflag_f32_e32 v6, v6
	s_ashr_i32 s31, s31, 31
	v_mul_f32_e32 v6, 0x4f7ffffe, v6
	v_cvt_u32_f32_e32 v6, v6
	v_readfirstlane_b32 s38, v6
	s_mul_i32 s37, s37, s38
	s_mul_hi_u32 s37, s38, s37
	s_add_i32 s38, s38, s37
	s_mul_hi_u32 s37, s35, s38
	s_mul_i32 s38, s37, s36
	s_sub_i32 s35, s35, s38
	s_add_i32 s39, s37, 1
	s_sub_i32 s38, s35, s36
	s_cmp_ge_u32 s35, s36
	s_cselect_b32 s37, s39, s37
	s_cselect_b32 s35, s38, s35
	s_add_i32 s38, s37, 1
	s_cmp_ge_u32 s35, s36
	s_cselect_b32 s35, s38, s37
	s_xor_b32 s35, s35, s31
	s_add_i32 s30, s30, -1
	s_sub_i32 s35, s35, s31
	s_cmp_lg_u32 s30, 0
	s_cbranch_scc1 .LBB1_180
; %bb.181:                              ;   in Loop: Header=BB1_173 Depth=2
	s_add_i32 s33, s33, 1
	s_add_i32 s34, s35, s34
	v_cmp_eq_u32_e32 vcc, s33, v1
	s_or_b64 s[12:13], vcc, s[12:13]
	v_mov_b32_e32 v11, s34
	s_andn2_b64 exec, exec, s[12:13]
	s_cbranch_execnz .LBB1_173
; %bb.182:                              ;   in Loop: Header=BB1_94 Depth=1
	s_or_b64 exec, exec, s[12:13]
.LBB1_183:                              ;   in Loop: Header=BB1_94 Depth=1
	s_or_b64 exec, exec, s[10:11]
	s_and_saveexec_b64 s[30:31], s[6:7]
	s_cbranch_execz .LBB1_206
; %bb.184:                              ;   in Loop: Header=BB1_94 Depth=1
	v_add_u32_e32 v23, -1, v1
	s_mov_b32 s33, 1
	s_mov_b32 s46, 0
	s_mov_b64 s[34:35], 0
	s_branch .LBB1_187
.LBB1_185:                              ;   in Loop: Header=BB1_187 Depth=2
	s_or_b64 exec, exec, s[38:39]
.LBB1_186:                              ;   in Loop: Header=BB1_187 Depth=2
	s_or_b64 exec, exec, s[36:37]
	s_add_i32 s33, s33, 1
	s_add_i32 s46, s46, 1
	v_cmp_eq_u32_e32 vcc, s33, v1
	s_or_b64 s[34:35], vcc, s[34:35]
	v_add_u32_e32 v23, -1, v23
	s_andn2_b64 exec, exec, s[34:35]
	s_cbranch_execz .LBB1_205
.LBB1_187:                              ;   Parent Loop BB1_94 Depth=1
                                        ; =>  This Loop Header: Depth=2
                                        ;       Child Loop BB1_190 Depth 3
                                        ;         Child Loop BB1_193 Depth 4
                                        ;         Child Loop BB1_197 Depth 4
	;; [unrolled: 1-line block ×3, first 2 shown]
	s_lshl_b32 s6, s33, 2
	v_add_u32_e32 v6, s6, v14
	v_add_u32_e32 v7, -4, v6
	buffer_load_dword v8, v6, s[0:3], 0 offen
	buffer_load_dword v24, v7, s[0:3], 0 offen
	s_waitcnt vmcnt(1)
	v_add_u32_e32 v25, -1, v8
	s_waitcnt vmcnt(0)
	v_cmp_lt_i32_e32 vcc, v24, v25
	s_and_saveexec_b64 s[36:37], vcc
	s_cbranch_execz .LBB1_186
; %bb.188:                              ;   in Loop: Header=BB1_187 Depth=2
	v_xad_u32 v6, s46, -1, v1
	v_subrev_u32_e32 v27, s33, v1
	v_and_b32_e32 v28, -4, v6
	v_and_b32_e32 v26, -4, v23
	v_cmp_lt_i32_e32 vcc, 0, v27
	v_cmp_lt_u32_e64 s[6:7], 3, v6
	v_cmp_ne_u32_e64 s[10:11], v6, v28
	s_mov_b64 s[38:39], 0
	s_branch .LBB1_190
.LBB1_189:                              ;   in Loop: Header=BB1_190 Depth=3
	s_or_b64 exec, exec, s[40:41]
	v_add_u32_e32 v24, 1, v24
	v_cmp_ge_i32_e64 s[12:13], v24, v25
	s_or_b64 s[38:39], s[12:13], s[38:39]
	v_add_u32_e32 v11, v7, v11
	s_andn2_b64 exec, exec, s[38:39]
	s_cbranch_execz .LBB1_185
.LBB1_190:                              ;   Parent Loop BB1_94 Depth=1
                                        ;     Parent Loop BB1_187 Depth=2
                                        ; =>    This Loop Header: Depth=3
                                        ;         Child Loop BB1_193 Depth 4
                                        ;         Child Loop BB1_197 Depth 4
	;; [unrolled: 1-line block ×3, first 2 shown]
	v_mov_b32_e32 v7, 1
	s_and_saveexec_b64 s[40:41], vcc
	s_cbranch_execz .LBB1_200
; %bb.191:                              ;   in Loop: Header=BB1_190 Depth=3
	v_sub_u32_e32 v6, 43, v24
	s_mov_b64 s[12:13], -1
	v_mov_b32_e32 v8, 0
	v_mov_b32_e32 v7, 1
	s_and_saveexec_b64 s[42:43], s[6:7]
	s_cbranch_execz .LBB1_195
; %bb.192:                              ;   in Loop: Header=BB1_190 Depth=3
	v_add_u32_e32 v7, -1, v6
	s_mov_b64 s[44:45], 0
	v_mov_b32_e32 v29, 1
	v_mov_b32_e32 v31, v26
	v_pk_mov_b32 v[8:9], v[6:7], v[6:7] op_sel:[0,1]
	v_mov_b32_e32 v7, 1
	v_mov_b32_e32 v30, 1
	v_mov_b32_e32 v32, 1
.LBB1_193:                              ;   Parent Loop BB1_94 Depth=1
                                        ;     Parent Loop BB1_187 Depth=2
                                        ;       Parent Loop BB1_190 Depth=3
                                        ; =>      This Inner Loop Header: Depth=4
	v_add_u32_e32 v31, -4, v31
	v_add_u32_e32 v33, -2, v8
	;; [unrolled: 1-line block ×3, first 2 shown]
	v_cmp_eq_u32_e64 s[12:13], 0, v31
	v_mul_lo_u32 v7, v7, v9
	v_mul_lo_u32 v29, v29, v8
	v_add_u32_e32 v9, -4, v9
	v_add_u32_e32 v8, -4, v8
	v_mul_lo_u32 v32, v32, v34
	s_or_b64 s[44:45], s[12:13], s[44:45]
	v_mul_lo_u32 v30, v30, v33
	s_andn2_b64 exec, exec, s[44:45]
	s_cbranch_execnz .LBB1_193
; %bb.194:                              ;   in Loop: Header=BB1_190 Depth=3
	s_or_b64 exec, exec, s[44:45]
	v_mul_lo_u32 v7, v32, v7
	v_mul_lo_u32 v8, v30, v29
	v_sub_u32_e32 v6, v6, v28
	v_mul_lo_u32 v7, v8, v7
	s_orn2_b64 s[12:13], s[10:11], exec
	v_mov_b32_e32 v8, v28
.LBB1_195:                              ;   in Loop: Header=BB1_190 Depth=3
	s_or_b64 exec, exec, s[42:43]
	s_and_saveexec_b64 s[42:43], s[12:13]
	s_cbranch_execz .LBB1_199
; %bb.196:                              ;   in Loop: Header=BB1_190 Depth=3
	s_mov_b64 s[44:45], 0
.LBB1_197:                              ;   Parent Loop BB1_94 Depth=1
                                        ;     Parent Loop BB1_187 Depth=2
                                        ;       Parent Loop BB1_190 Depth=3
                                        ; =>      This Inner Loop Header: Depth=4
	v_add_u32_e32 v8, 1, v8
	v_cmp_eq_u32_e64 s[12:13], v23, v8
	v_mul_lo_u32 v7, v7, v6
	s_or_b64 s[44:45], s[12:13], s[44:45]
	v_add_u32_e32 v6, -1, v6
	s_andn2_b64 exec, exec, s[44:45]
	s_cbranch_execnz .LBB1_197
; %bb.198:                              ;   in Loop: Header=BB1_190 Depth=3
	s_or_b64 exec, exec, s[44:45]
.LBB1_199:                              ;   in Loop: Header=BB1_190 Depth=3
	s_or_b64 exec, exec, s[42:43]
.LBB1_200:                              ;   in Loop: Header=BB1_190 Depth=3
	s_or_b64 exec, exec, s[40:41]
	s_and_saveexec_b64 s[40:41], vcc
	s_cbranch_execz .LBB1_189
; %bb.201:                              ;   in Loop: Header=BB1_190 Depth=3
	s_mov_b64 s[42:43], 0
	v_mov_b32_e32 v6, v27
.LBB1_202:                              ;   Parent Loop BB1_94 Depth=1
                                        ;     Parent Loop BB1_187 Depth=2
                                        ;       Parent Loop BB1_190 Depth=3
                                        ; =>      This Inner Loop Header: Depth=4
	v_sub_u32_e32 v9, 0, v7
	v_sub_u32_e32 v29, 0, v6
	v_xor_b32_e32 v8, v7, v6
	v_max_i32_e32 v7, v7, v9
	v_max_i32_e32 v9, v6, v29
	v_cvt_f32_u32_e32 v29, v9
	v_sub_u32_e32 v30, 0, v9
	v_add_u32_e32 v6, -1, v6
	v_cmp_eq_u32_e64 s[12:13], 0, v6
	v_rcp_iflag_f32_e32 v29, v29
	s_or_b64 s[42:43], s[12:13], s[42:43]
	v_ashrrev_i32_e32 v8, 31, v8
	v_mul_f32_e32 v29, 0x4f7ffffe, v29
	v_cvt_u32_f32_e32 v29, v29
	v_mul_lo_u32 v30, v30, v29
	v_mul_hi_u32 v30, v29, v30
	v_add_u32_e32 v29, v29, v30
	v_mul_hi_u32 v29, v7, v29
	v_mul_lo_u32 v30, v29, v9
	v_sub_u32_e32 v7, v7, v30
	v_add_u32_e32 v31, 1, v29
	v_cmp_ge_u32_e64 s[12:13], v7, v9
	v_sub_u32_e32 v30, v7, v9
	v_cndmask_b32_e64 v29, v29, v31, s[12:13]
	v_cndmask_b32_e64 v7, v7, v30, s[12:13]
	v_add_u32_e32 v30, 1, v29
	v_cmp_ge_u32_e64 s[12:13], v7, v9
	v_cndmask_b32_e64 v7, v29, v30, s[12:13]
	v_xor_b32_e32 v7, v7, v8
	v_sub_u32_e32 v7, v7, v8
	s_andn2_b64 exec, exec, s[42:43]
	s_cbranch_execnz .LBB1_202
; %bb.203:                              ;   in Loop: Header=BB1_190 Depth=3
	s_or_b64 exec, exec, s[42:43]
	s_branch .LBB1_189
.LBB1_204:                              ;   in Loop: Header=BB1_94 Depth=1
	s_andn2_saveexec_b64 s[6:7], s[28:29]
	s_cbranch_execz .LBB1_92
	s_branch .LBB1_207
.LBB1_205:                              ;   in Loop: Header=BB1_94 Depth=1
	s_or_b64 exec, exec, s[34:35]
.LBB1_206:                              ;   in Loop: Header=BB1_94 Depth=1
	s_or_b64 exec, exec, s[30:31]
	v_add_u32_e32 v1, -4, v10
	buffer_load_dword v6, v10, s[0:3], 0 offen
	buffer_load_dword v7, v1, s[0:3], 0 offen
	s_waitcnt vmcnt(1)
	v_add_u32_e32 v1, v6, v11
	s_waitcnt vmcnt(0)
	v_sub_u32_e32 v6, v1, v7
	s_andn2_saveexec_b64 s[6:7], s[28:29]
	s_cbranch_execz .LBB1_92
.LBB1_207:                              ;   in Loop: Header=BB1_94 Depth=1
	v_mov_b32_e32 v6, 0
	buffer_store_dword v22, off, s[0:3], 0 offset:192
	s_branch .LBB1_92
.LBB1_208:
	s_or_b64 exec, exec, s[22:23]
	s_branch .LBB1_210
.LBB1_209:
	v_mov_b32_e32 v12, 0xd8635fa9
	v_mov_b32_e32 v4, 0
	;; [unrolled: 1-line block ×4, first 2 shown]
.LBB1_210:
	v_cvt_f32_u32_e32 v1, v0
	s_movk_i32 s6, 0x80
	v_lshl_add_u32 v8, v0, 2, 0
	v_cmp_gt_u32_e32 vcc, s6, v0
	ds_write_b32 v8, v12
	s_waitcnt lgkmcnt(0)
	s_barrier
	s_and_saveexec_b64 s[14:15], vcc
	s_cbranch_execz .LBB1_219
; %bb.211:
	ds_read2st64_b32 v[6:7], v8 offset1:2
	s_mov_b64 s[12:13], -1
                                        ; implicit-def: $vgpr9
	s_waitcnt lgkmcnt(0)
	v_cmp_ngt_f32_e64 s[6:7], v7, v6
	v_cmp_ngt_f32_e64 s[10:11], 0, v7
	v_cmp_gt_f32_e32 vcc, 0, v7
	s_or_b64 s[10:11], s[10:11], s[6:7]
	s_mov_b64 s[6:7], 0
	s_and_saveexec_b64 s[16:17], s[10:11]
	s_cbranch_execz .LBB1_291
; %bb.212:
	v_cmp_nlt_f32_e64 s[10:11], v7, v6
	v_cmp_ngt_f32_e64 s[12:13], 0, v6
	v_cmp_gt_f32_e64 s[6:7], 0, v6
	s_or_b64 s[18:19], s[10:11], s[12:13]
	s_mov_b64 s[10:11], 0
	s_mov_b64 s[20:21], -1
	v_mov_b32_e32 v9, v1
	s_and_saveexec_b64 s[12:13], s[18:19]
	s_cbranch_execz .LBB1_216
; %bb.213:
	v_cmp_nlt_f32_e64 s[10:11], 0, v6
	s_xor_b64 s[20:21], vcc, -1
	s_mov_b64 s[18:19], -1
	s_or_b64 s[22:23], s[20:21], s[10:11]
	s_mov_b64 s[10:11], 0
	s_and_saveexec_b64 s[20:21], s[22:23]
; %bb.214:
	v_cmp_lt_f32_e32 vcc, 0, v7
	s_and_b64 s[6:7], vcc, s[6:7]
	s_and_b64 s[10:11], s[6:7], exec
	s_xor_b64 s[18:19], exec, -1
; %bb.215:
	s_or_b64 exec, exec, s[20:21]
	s_orn2_b64 s[20:21], s[10:11], exec
	s_and_b64 s[10:11], s[18:19], exec
	v_mov_b32_e32 v9, v1
.LBB1_216:
	s_or_b64 exec, exec, s[12:13]
	s_and_b64 s[6:7], s[20:21], exec
	s_orn2_b64 s[12:13], s[10:11], exec
	s_or_b64 exec, exec, s[16:17]
	s_and_saveexec_b64 s[10:11], s[12:13]
	s_cbranch_execnz .LBB1_292
.LBB1_217:
	s_or_b64 exec, exec, s[10:11]
	s_and_b64 exec, exec, s[6:7]
	s_cbranch_execz .LBB1_219
.LBB1_218:
	ds_write_b32 v8, v9 offset:512
.LBB1_219:
	s_or_b64 exec, exec, s[14:15]
	v_cmp_gt_u32_e32 vcc, 64, v0
	s_waitcnt lgkmcnt(0)
	s_barrier
	s_and_saveexec_b64 s[14:15], vcc
	s_cbranch_execz .LBB1_228
; %bb.220:
	ds_read2st64_b32 v[6:7], v8 offset1:1
	s_mov_b64 s[12:13], -1
                                        ; implicit-def: $vgpr9
	s_waitcnt lgkmcnt(0)
	v_cmp_ngt_f32_e64 s[6:7], v7, v6
	v_cmp_ngt_f32_e64 s[10:11], 0, v7
	v_cmp_gt_f32_e32 vcc, 0, v7
	s_or_b64 s[10:11], s[10:11], s[6:7]
	s_mov_b64 s[6:7], 0
	s_and_saveexec_b64 s[16:17], s[10:11]
	s_cbranch_execz .LBB1_293
; %bb.221:
	v_cmp_nlt_f32_e64 s[10:11], v7, v6
	v_cmp_ngt_f32_e64 s[12:13], 0, v6
	v_cmp_gt_f32_e64 s[6:7], 0, v6
	s_or_b64 s[18:19], s[10:11], s[12:13]
	s_mov_b64 s[10:11], 0
	s_mov_b64 s[20:21], -1
	v_mov_b32_e32 v9, v1
	s_and_saveexec_b64 s[12:13], s[18:19]
	s_cbranch_execz .LBB1_225
; %bb.222:
	v_cmp_nlt_f32_e64 s[10:11], 0, v6
	s_xor_b64 s[20:21], vcc, -1
	s_mov_b64 s[18:19], -1
	s_or_b64 s[22:23], s[20:21], s[10:11]
	s_mov_b64 s[10:11], 0
	s_and_saveexec_b64 s[20:21], s[22:23]
; %bb.223:
	v_cmp_lt_f32_e32 vcc, 0, v7
	s_and_b64 s[6:7], vcc, s[6:7]
	s_and_b64 s[10:11], s[6:7], exec
	s_xor_b64 s[18:19], exec, -1
; %bb.224:
	s_or_b64 exec, exec, s[20:21]
	s_orn2_b64 s[20:21], s[10:11], exec
	s_and_b64 s[10:11], s[18:19], exec
	v_mov_b32_e32 v9, v1
.LBB1_225:
	s_or_b64 exec, exec, s[12:13]
	s_and_b64 s[6:7], s[20:21], exec
	s_orn2_b64 s[12:13], s[10:11], exec
	s_or_b64 exec, exec, s[16:17]
	s_and_saveexec_b64 s[10:11], s[12:13]
	s_cbranch_execnz .LBB1_294
.LBB1_226:
	s_or_b64 exec, exec, s[10:11]
	s_and_b64 exec, exec, s[6:7]
	s_cbranch_execz .LBB1_228
.LBB1_227:
	ds_write_b32 v8, v9 offset:256
.LBB1_228:
	s_or_b64 exec, exec, s[14:15]
	v_cmp_gt_u32_e32 vcc, 32, v0
	s_waitcnt lgkmcnt(0)
	s_barrier
	s_and_saveexec_b64 s[14:15], vcc
	s_cbranch_execz .LBB1_237
; %bb.229:
	ds_read2_b32 v[6:7], v8 offset1:32
	s_mov_b64 s[12:13], -1
                                        ; implicit-def: $vgpr9
	s_waitcnt lgkmcnt(0)
	v_cmp_ngt_f32_e64 s[6:7], v7, v6
	v_cmp_ngt_f32_e64 s[10:11], 0, v7
	v_cmp_gt_f32_e32 vcc, 0, v7
	s_or_b64 s[10:11], s[10:11], s[6:7]
	s_mov_b64 s[6:7], 0
	s_and_saveexec_b64 s[16:17], s[10:11]
	s_cbranch_execz .LBB1_295
; %bb.230:
	v_cmp_nlt_f32_e64 s[10:11], v7, v6
	v_cmp_ngt_f32_e64 s[12:13], 0, v6
	v_cmp_gt_f32_e64 s[6:7], 0, v6
	s_or_b64 s[18:19], s[10:11], s[12:13]
	s_mov_b64 s[10:11], 0
	s_mov_b64 s[20:21], -1
	v_mov_b32_e32 v9, v1
	s_and_saveexec_b64 s[12:13], s[18:19]
	s_cbranch_execz .LBB1_234
; %bb.231:
	v_cmp_nlt_f32_e64 s[10:11], 0, v6
	s_xor_b64 s[20:21], vcc, -1
	s_mov_b64 s[18:19], -1
	s_or_b64 s[22:23], s[20:21], s[10:11]
	s_mov_b64 s[10:11], 0
	s_and_saveexec_b64 s[20:21], s[22:23]
; %bb.232:
	v_cmp_lt_f32_e32 vcc, 0, v7
	s_and_b64 s[6:7], vcc, s[6:7]
	s_and_b64 s[10:11], s[6:7], exec
	s_xor_b64 s[18:19], exec, -1
; %bb.233:
	s_or_b64 exec, exec, s[20:21]
	s_orn2_b64 s[20:21], s[10:11], exec
	s_and_b64 s[10:11], s[18:19], exec
	v_mov_b32_e32 v9, v1
.LBB1_234:
	s_or_b64 exec, exec, s[12:13]
	s_and_b64 s[6:7], s[20:21], exec
	s_orn2_b64 s[12:13], s[10:11], exec
	s_or_b64 exec, exec, s[16:17]
	s_and_saveexec_b64 s[10:11], s[12:13]
	s_cbranch_execnz .LBB1_296
.LBB1_235:
	s_or_b64 exec, exec, s[10:11]
	s_and_b64 exec, exec, s[6:7]
	s_cbranch_execz .LBB1_237
.LBB1_236:
	ds_write_b32 v8, v9 offset:128
.LBB1_237:
	s_or_b64 exec, exec, s[14:15]
	v_cmp_gt_u32_e32 vcc, 16, v0
	s_waitcnt lgkmcnt(0)
	s_barrier
	s_and_saveexec_b64 s[14:15], vcc
	s_cbranch_execz .LBB1_246
; %bb.238:
	ds_read2_b32 v[6:7], v8 offset1:16
	s_mov_b64 s[12:13], -1
                                        ; implicit-def: $vgpr9
	s_waitcnt lgkmcnt(0)
	v_cmp_ngt_f32_e64 s[6:7], v7, v6
	v_cmp_ngt_f32_e64 s[10:11], 0, v7
	v_cmp_gt_f32_e32 vcc, 0, v7
	s_or_b64 s[10:11], s[10:11], s[6:7]
	s_mov_b64 s[6:7], 0
	s_and_saveexec_b64 s[16:17], s[10:11]
	s_cbranch_execz .LBB1_297
; %bb.239:
	v_cmp_nlt_f32_e64 s[10:11], v7, v6
	v_cmp_ngt_f32_e64 s[12:13], 0, v6
	v_cmp_gt_f32_e64 s[6:7], 0, v6
	s_or_b64 s[18:19], s[10:11], s[12:13]
	s_mov_b64 s[10:11], 0
	s_mov_b64 s[20:21], -1
	v_mov_b32_e32 v9, v1
	s_and_saveexec_b64 s[12:13], s[18:19]
	s_cbranch_execz .LBB1_243
; %bb.240:
	v_cmp_nlt_f32_e64 s[10:11], 0, v6
	s_xor_b64 s[20:21], vcc, -1
	s_mov_b64 s[18:19], -1
	s_or_b64 s[22:23], s[20:21], s[10:11]
	s_mov_b64 s[10:11], 0
	s_and_saveexec_b64 s[20:21], s[22:23]
; %bb.241:
	v_cmp_lt_f32_e32 vcc, 0, v7
	s_and_b64 s[6:7], vcc, s[6:7]
	s_and_b64 s[10:11], s[6:7], exec
	s_xor_b64 s[18:19], exec, -1
; %bb.242:
	s_or_b64 exec, exec, s[20:21]
	s_orn2_b64 s[20:21], s[10:11], exec
	s_and_b64 s[10:11], s[18:19], exec
	v_mov_b32_e32 v9, v1
.LBB1_243:
	s_or_b64 exec, exec, s[12:13]
	s_and_b64 s[6:7], s[20:21], exec
	s_orn2_b64 s[12:13], s[10:11], exec
	s_or_b64 exec, exec, s[16:17]
	s_and_saveexec_b64 s[10:11], s[12:13]
	s_cbranch_execnz .LBB1_298
.LBB1_244:
	s_or_b64 exec, exec, s[10:11]
	s_and_b64 exec, exec, s[6:7]
	s_cbranch_execz .LBB1_246
.LBB1_245:
	ds_write_b32 v8, v9 offset:64
.LBB1_246:
	s_or_b64 exec, exec, s[14:15]
	v_cmp_gt_u32_e32 vcc, 8, v0
	s_waitcnt lgkmcnt(0)
	s_barrier
	s_and_saveexec_b64 s[14:15], vcc
	s_cbranch_execz .LBB1_255
; %bb.247:
	ds_read2_b32 v[6:7], v8 offset1:8
	s_mov_b64 s[12:13], -1
                                        ; implicit-def: $vgpr9
	s_waitcnt lgkmcnt(0)
	v_cmp_ngt_f32_e64 s[6:7], v7, v6
	v_cmp_ngt_f32_e64 s[10:11], 0, v7
	v_cmp_gt_f32_e32 vcc, 0, v7
	s_or_b64 s[10:11], s[10:11], s[6:7]
	s_mov_b64 s[6:7], 0
	s_and_saveexec_b64 s[16:17], s[10:11]
	s_cbranch_execz .LBB1_299
; %bb.248:
	v_cmp_nlt_f32_e64 s[10:11], v7, v6
	v_cmp_ngt_f32_e64 s[12:13], 0, v6
	v_cmp_gt_f32_e64 s[6:7], 0, v6
	s_or_b64 s[18:19], s[10:11], s[12:13]
	s_mov_b64 s[10:11], 0
	s_mov_b64 s[20:21], -1
	v_mov_b32_e32 v9, v1
	s_and_saveexec_b64 s[12:13], s[18:19]
	s_cbranch_execz .LBB1_252
; %bb.249:
	v_cmp_nlt_f32_e64 s[10:11], 0, v6
	s_xor_b64 s[20:21], vcc, -1
	s_mov_b64 s[18:19], -1
	s_or_b64 s[22:23], s[20:21], s[10:11]
	s_mov_b64 s[10:11], 0
	s_and_saveexec_b64 s[20:21], s[22:23]
; %bb.250:
	v_cmp_lt_f32_e32 vcc, 0, v7
	s_and_b64 s[6:7], vcc, s[6:7]
	s_and_b64 s[10:11], s[6:7], exec
	s_xor_b64 s[18:19], exec, -1
; %bb.251:
	s_or_b64 exec, exec, s[20:21]
	s_orn2_b64 s[20:21], s[10:11], exec
	s_and_b64 s[10:11], s[18:19], exec
	v_mov_b32_e32 v9, v1
.LBB1_252:
	s_or_b64 exec, exec, s[12:13]
	s_and_b64 s[6:7], s[20:21], exec
	s_orn2_b64 s[12:13], s[10:11], exec
	s_or_b64 exec, exec, s[16:17]
	s_and_saveexec_b64 s[10:11], s[12:13]
	s_cbranch_execnz .LBB1_300
.LBB1_253:
	s_or_b64 exec, exec, s[10:11]
	s_and_b64 exec, exec, s[6:7]
	s_cbranch_execz .LBB1_255
.LBB1_254:
	ds_write_b32 v8, v9 offset:32
.LBB1_255:
	s_or_b64 exec, exec, s[14:15]
	v_cmp_gt_u32_e32 vcc, 4, v0
	s_waitcnt lgkmcnt(0)
	s_barrier
	s_and_saveexec_b64 s[14:15], vcc
	s_cbranch_execz .LBB1_264
; %bb.256:
	ds_read2_b32 v[6:7], v8 offset1:4
	s_mov_b64 s[12:13], -1
                                        ; implicit-def: $vgpr9
	s_waitcnt lgkmcnt(0)
	v_cmp_ngt_f32_e64 s[6:7], v7, v6
	v_cmp_ngt_f32_e64 s[10:11], 0, v7
	v_cmp_gt_f32_e32 vcc, 0, v7
	s_or_b64 s[10:11], s[10:11], s[6:7]
	s_mov_b64 s[6:7], 0
	s_and_saveexec_b64 s[16:17], s[10:11]
	s_cbranch_execz .LBB1_301
; %bb.257:
	v_cmp_nlt_f32_e64 s[10:11], v7, v6
	v_cmp_ngt_f32_e64 s[12:13], 0, v6
	v_cmp_gt_f32_e64 s[6:7], 0, v6
	s_or_b64 s[18:19], s[10:11], s[12:13]
	s_mov_b64 s[10:11], 0
	s_mov_b64 s[20:21], -1
	v_mov_b32_e32 v9, v1
	s_and_saveexec_b64 s[12:13], s[18:19]
	s_cbranch_execz .LBB1_261
; %bb.258:
	v_cmp_nlt_f32_e64 s[10:11], 0, v6
	s_xor_b64 s[20:21], vcc, -1
	s_mov_b64 s[18:19], -1
	s_or_b64 s[22:23], s[20:21], s[10:11]
	s_mov_b64 s[10:11], 0
	s_and_saveexec_b64 s[20:21], s[22:23]
; %bb.259:
	v_cmp_lt_f32_e32 vcc, 0, v7
	s_and_b64 s[6:7], vcc, s[6:7]
	s_and_b64 s[10:11], s[6:7], exec
	s_xor_b64 s[18:19], exec, -1
; %bb.260:
	s_or_b64 exec, exec, s[20:21]
	s_orn2_b64 s[20:21], s[10:11], exec
	s_and_b64 s[10:11], s[18:19], exec
	v_mov_b32_e32 v9, v1
.LBB1_261:
	s_or_b64 exec, exec, s[12:13]
	s_and_b64 s[6:7], s[20:21], exec
	s_orn2_b64 s[12:13], s[10:11], exec
	s_or_b64 exec, exec, s[16:17]
	s_and_saveexec_b64 s[10:11], s[12:13]
	s_cbranch_execnz .LBB1_302
.LBB1_262:
	s_or_b64 exec, exec, s[10:11]
	s_and_b64 exec, exec, s[6:7]
	s_cbranch_execz .LBB1_264
.LBB1_263:
	ds_write_b32 v8, v9 offset:16
.LBB1_264:
	s_or_b64 exec, exec, s[14:15]
	v_cmp_gt_u32_e32 vcc, 2, v0
	s_waitcnt lgkmcnt(0)
	s_barrier
	s_and_saveexec_b64 s[14:15], vcc
	s_cbranch_execz .LBB1_273
; %bb.265:
	ds_read2_b32 v[6:7], v8 offset1:2
	s_mov_b64 s[12:13], -1
                                        ; implicit-def: $vgpr9
	s_waitcnt lgkmcnt(0)
	v_cmp_ngt_f32_e64 s[6:7], v7, v6
	v_cmp_ngt_f32_e64 s[10:11], 0, v7
	v_cmp_gt_f32_e32 vcc, 0, v7
	s_or_b64 s[10:11], s[10:11], s[6:7]
	s_mov_b64 s[6:7], 0
	s_and_saveexec_b64 s[16:17], s[10:11]
	s_cbranch_execz .LBB1_303
; %bb.266:
	v_cmp_nlt_f32_e64 s[10:11], v7, v6
	v_cmp_ngt_f32_e64 s[12:13], 0, v6
	v_cmp_gt_f32_e64 s[6:7], 0, v6
	s_or_b64 s[18:19], s[10:11], s[12:13]
	s_mov_b64 s[10:11], 0
	s_mov_b64 s[20:21], -1
	v_mov_b32_e32 v9, v1
	s_and_saveexec_b64 s[12:13], s[18:19]
	s_cbranch_execz .LBB1_270
; %bb.267:
	v_cmp_nlt_f32_e64 s[10:11], 0, v6
	s_xor_b64 s[20:21], vcc, -1
	s_mov_b64 s[18:19], -1
	s_or_b64 s[22:23], s[20:21], s[10:11]
	s_mov_b64 s[10:11], 0
	s_and_saveexec_b64 s[20:21], s[22:23]
; %bb.268:
	v_cmp_lt_f32_e32 vcc, 0, v7
	s_and_b64 s[6:7], vcc, s[6:7]
	s_and_b64 s[10:11], s[6:7], exec
	s_xor_b64 s[18:19], exec, -1
; %bb.269:
	s_or_b64 exec, exec, s[20:21]
	s_orn2_b64 s[20:21], s[10:11], exec
	s_and_b64 s[10:11], s[18:19], exec
	v_mov_b32_e32 v9, v1
.LBB1_270:
	s_or_b64 exec, exec, s[12:13]
	s_and_b64 s[6:7], s[20:21], exec
	s_orn2_b64 s[12:13], s[10:11], exec
	s_or_b64 exec, exec, s[16:17]
	s_and_saveexec_b64 s[10:11], s[12:13]
	s_cbranch_execnz .LBB1_304
.LBB1_271:
	s_or_b64 exec, exec, s[10:11]
	s_and_b64 exec, exec, s[6:7]
	s_cbranch_execz .LBB1_273
.LBB1_272:
	ds_write_b32 v8, v9 offset:8
.LBB1_273:
	s_or_b64 exec, exec, s[14:15]
	v_cmp_eq_u32_e32 vcc, 0, v0
	s_waitcnt lgkmcnt(0)
	s_barrier
	s_and_saveexec_b64 s[16:17], vcc
	s_cbranch_execz .LBB1_282
; %bb.274:
	v_mov_b32_e32 v6, 0
	ds_read_b32 v6, v6 offset:4
	ds_read_b32 v7, v8
	s_mov_b64 s[14:15], -1
	s_waitcnt lgkmcnt(1)
	v_cmp_ngt_f32_e64 s[12:13], 0, v6
	s_waitcnt lgkmcnt(0)
	v_cmp_ngt_f32_e64 s[10:11], v6, v7
	v_cmp_gt_f32_e64 s[6:7], 0, v6
	s_or_b64 s[12:13], s[12:13], s[10:11]
	s_mov_b64 s[10:11], 0
	s_and_saveexec_b64 s[18:19], s[12:13]
	s_cbranch_execz .LBB1_305
; %bb.275:
	v_cmp_nlt_f32_e64 s[12:13], v6, v7
	v_cmp_ngt_f32_e64 s[14:15], 0, v7
	v_cmp_gt_f32_e64 s[10:11], 0, v7
	s_or_b64 s[20:21], s[12:13], s[14:15]
	s_mov_b64 s[12:13], 0
	s_mov_b64 s[22:23], -1
	s_and_saveexec_b64 s[14:15], s[20:21]
	s_cbranch_execz .LBB1_279
; %bb.276:
	v_cmp_nlt_f32_e64 s[12:13], 0, v7
	s_xor_b64 s[6:7], s[6:7], -1
	s_mov_b64 s[20:21], -1
	s_or_b64 s[22:23], s[6:7], s[12:13]
	s_mov_b64 s[6:7], 0
	s_and_saveexec_b64 s[12:13], s[22:23]
; %bb.277:
	v_cmp_lt_f32_e64 s[6:7], 0, v6
	s_and_b64 s[6:7], s[6:7], s[10:11]
	s_and_b64 s[6:7], s[6:7], exec
	s_xor_b64 s[20:21], exec, -1
; %bb.278:
	s_or_b64 exec, exec, s[12:13]
	s_orn2_b64 s[22:23], s[6:7], exec
	s_and_b64 s[12:13], s[20:21], exec
.LBB1_279:
	s_or_b64 exec, exec, s[14:15]
	s_and_b64 s[10:11], s[22:23], exec
	s_orn2_b64 s[14:15], s[12:13], exec
	s_or_b64 exec, exec, s[18:19]
	s_and_saveexec_b64 s[6:7], s[14:15]
	s_cbranch_execnz .LBB1_306
.LBB1_280:
	s_or_b64 exec, exec, s[6:7]
	s_and_b64 exec, exec, s[10:11]
	s_cbranch_execz .LBB1_282
.LBB1_281:
	v_mov_b32_e32 v6, 0
	ds_write_b32 v6, v1 offset:4
.LBB1_282:
	s_or_b64 exec, exec, s[16:17]
	s_load_dwordx4 s[4:7], s[4:5], 0x20
	s_waitcnt lgkmcnt(0)
	s_barrier
	s_and_saveexec_b64 s[10:11], vcc
	s_cbranch_execz .LBB1_288
; %bb.283:
	v_mov_b32_e32 v8, 0
	ds_read2_b32 v[6:7], v8 offset1:1
	s_mov_b32 s9, 0
	s_lshl_b64 s[12:13], s[8:9], 2
	s_movk_i32 s9, 0x7f
	s_add_u32 s4, s4, s12
	s_waitcnt lgkmcnt(0)
	v_cvt_i32_f32_e32 v1, v7
	s_addc_u32 s5, s5, s13
	global_store_dword v8, v6, s[4:5]
	v_cmp_lt_u32_e32 vcc, s9, v1
	s_cbranch_vccnz .LBB1_287
; %bb.284:
	s_mov_b32 s15, 1
	s_mov_b32 s4, 0x3f317218
	;; [unrolled: 1-line block ×4, first 2 shown]
	v_mov_b32_e32 v6, 0x37000000
	s_mov_b32 s12, 0x3fb8aa3b
	s_mov_b32 s13, 0xc2ce8ed0
	v_mov_b32_e32 v7, 0x7f800000
	s_movk_i32 s14, 0x204
.LBB1_285:                              ; =>This Inner Loop Header: Depth=1
	v_cvt_f32_u32_e32 v8, s15
	s_add_i32 s16, s15, 1
	s_cmp_lt_u32 s15, 6
	s_mov_b32 s15, s16
	v_mul_f32_e32 v9, 0x3f317218, v8
	v_fma_f32 v10, v8, s4, -v9
	v_fmac_f32_e32 v10, 0xb102e308, v8
	v_add_f32_e32 v8, v9, v10
	v_cmp_eq_f32_e32 vcc, s5, v9
	v_sub_f32_e32 v11, v8, v9
	v_cndmask_b32_e32 v8, v8, v9, vcc
	v_cmp_eq_f32_e32 vcc, s9, v8
	v_sub_f32_e32 v9, v10, v11
	v_cndmask_b32_e32 v10, 0, v6, vcc
	v_cmp_neq_f32_e64 vcc, |v8|, s5
	v_cndmask_b32_e32 v9, 0, v9, vcc
	v_sub_f32_e32 v8, v8, v10
	v_add_f32_e32 v9, v10, v9
	v_mul_f32_e32 v10, 0x3fb8aa3b, v8
	v_fma_f32 v11, v8, s12, -v10
	v_rndne_f32_e32 v12, v10
	v_fmac_f32_e32 v11, 0x32a5705f, v8
	v_sub_f32_e32 v10, v10, v12
	v_add_f32_e32 v10, v10, v11
	v_cvt_i32_f32_e32 v12, v12
	v_exp_f32_e32 v10, v10
	v_cmp_ngt_f32_e32 vcc, s13, v8
	s_cselect_b64 s[18:19], -1, 0
	v_ldexp_f32 v10, v10, v12
	v_cndmask_b32_e32 v10, 0, v10, vcc
	v_cmp_nlt_f32_e32 vcc, s9, v8
	v_cndmask_b32_e32 v8, v7, v10, vcc
	v_fma_f32 v9, v8, v9, v8
	v_cmp_class_f32_e64 vcc, v8, s14
	v_cndmask_b32_e32 v8, v9, v8, vcc
	v_cvt_i32_f32_e64 v8, |v8|
	v_add_u32_e32 v1, v1, v8
	v_lshlrev_b32_e32 v1, 2, v1
	v_add_u32_e32 v1, 0, v1
	ds_read_b32 v1, v1
	s_waitcnt lgkmcnt(0)
	v_cvt_i32_f32_e32 v1, v1
	v_readfirstlane_b32 s16, v1
	s_cmpk_lt_u32 s16, 0x80
	s_cselect_b64 s[20:21], -1, 0
	s_and_b64 s[18:19], s[18:19], s[20:21]
	v_mov_b32_e32 v1, s16
	s_and_b64 vcc, exec, s[18:19]
	s_cbranch_vccnz .LBB1_285
; %bb.286:
	v_mov_b32_e32 v1, s16
.LBB1_287:
	v_cvt_f32_i32_e32 v1, v1
	v_mov_b32_e32 v6, 0
	ds_write_b32 v6, v1
.LBB1_288:
	s_or_b64 exec, exec, s[10:11]
	v_mov_b32_e32 v1, 0
	s_waitcnt lgkmcnt(0)
	s_barrier
	ds_read_b32 v6, v1
	s_mov_b32 s5, 0
	s_waitcnt lgkmcnt(0)
	v_cvt_i32_f32_e32 v6, v6
	v_cmp_eq_u32_e32 vcc, v0, v6
	s_and_saveexec_b64 s[10:11], vcc
	s_cbranch_execz .LBB1_290
; %bb.289:
	s_lshl_b32 s4, s8, 2
	s_lshl_b64 s[4:5], s[4:5], 2
	s_add_u32 s4, s6, s4
	s_addc_u32 s5, s7, s5
	global_store_dwordx4 v1, v[2:5], s[4:5]
.LBB1_290:
	s_endpgm
.LBB1_291:
	s_or_b64 exec, exec, s[16:17]
	s_and_saveexec_b64 s[10:11], s[12:13]
	s_cbranch_execz .LBB1_217
.LBB1_292:
	v_or_b32_e32 v6, 0x80, v0
	v_cvt_f32_u32_e32 v9, v6
	s_or_b64 s[6:7], s[6:7], exec
	ds_write_b32 v8, v7
	s_or_b64 exec, exec, s[10:11]
	s_and_b64 exec, exec, s[6:7]
	s_cbranch_execnz .LBB1_218
	s_branch .LBB1_219
.LBB1_293:
	s_or_b64 exec, exec, s[16:17]
	s_and_saveexec_b64 s[10:11], s[12:13]
	s_cbranch_execz .LBB1_226
.LBB1_294:
	v_or_b32_e32 v6, 64, v0
	v_cvt_f32_u32_e32 v9, v6
	s_or_b64 s[6:7], s[6:7], exec
	ds_write_b32 v8, v7
	s_or_b64 exec, exec, s[10:11]
	s_and_b64 exec, exec, s[6:7]
	s_cbranch_execnz .LBB1_227
	s_branch .LBB1_228
.LBB1_295:
	s_or_b64 exec, exec, s[16:17]
	s_and_saveexec_b64 s[10:11], s[12:13]
	s_cbranch_execz .LBB1_235
.LBB1_296:
	v_or_b32_e32 v6, 32, v0
	v_cvt_f32_u32_e32 v9, v6
	s_or_b64 s[6:7], s[6:7], exec
	ds_write_b32 v8, v7
	s_or_b64 exec, exec, s[10:11]
	s_and_b64 exec, exec, s[6:7]
	s_cbranch_execnz .LBB1_236
	s_branch .LBB1_237
.LBB1_297:
	s_or_b64 exec, exec, s[16:17]
	s_and_saveexec_b64 s[10:11], s[12:13]
	s_cbranch_execz .LBB1_244
.LBB1_298:
	v_or_b32_e32 v6, 16, v0
	v_cvt_f32_u32_e32 v9, v6
	s_or_b64 s[6:7], s[6:7], exec
	ds_write_b32 v8, v7
	s_or_b64 exec, exec, s[10:11]
	s_and_b64 exec, exec, s[6:7]
	s_cbranch_execnz .LBB1_245
	s_branch .LBB1_246
.LBB1_299:
	s_or_b64 exec, exec, s[16:17]
	s_and_saveexec_b64 s[10:11], s[12:13]
	s_cbranch_execz .LBB1_253
.LBB1_300:
	v_or_b32_e32 v6, 8, v0
	v_cvt_f32_u32_e32 v9, v6
	s_or_b64 s[6:7], s[6:7], exec
	ds_write_b32 v8, v7
	s_or_b64 exec, exec, s[10:11]
	s_and_b64 exec, exec, s[6:7]
	s_cbranch_execnz .LBB1_254
	s_branch .LBB1_255
.LBB1_301:
	s_or_b64 exec, exec, s[16:17]
	s_and_saveexec_b64 s[10:11], s[12:13]
	s_cbranch_execz .LBB1_262
.LBB1_302:
	v_or_b32_e32 v6, 4, v0
	v_cvt_f32_u32_e32 v9, v6
	s_or_b64 s[6:7], s[6:7], exec
	ds_write_b32 v8, v7
	s_or_b64 exec, exec, s[10:11]
	s_and_b64 exec, exec, s[6:7]
	s_cbranch_execnz .LBB1_263
	s_branch .LBB1_264
.LBB1_303:
	s_or_b64 exec, exec, s[16:17]
	s_and_saveexec_b64 s[10:11], s[12:13]
	s_cbranch_execz .LBB1_271
.LBB1_304:
	v_or_b32_e32 v6, 2, v0
	v_cvt_f32_u32_e32 v9, v6
	s_or_b64 s[6:7], s[6:7], exec
	ds_write_b32 v8, v7
	s_or_b64 exec, exec, s[10:11]
	s_and_b64 exec, exec, s[6:7]
	s_cbranch_execnz .LBB1_272
	s_branch .LBB1_273
.LBB1_305:
	s_or_b64 exec, exec, s[18:19]
	s_and_saveexec_b64 s[6:7], s[14:15]
	s_cbranch_execz .LBB1_280
.LBB1_306:
	v_mov_b32_e32 v1, 1.0
	s_or_b64 s[10:11], s[10:11], exec
	ds_write_b32 v8, v6
	s_or_b64 exec, exec, s[6:7]
	s_and_b64 exec, exec, s[10:11]
	s_cbranch_execnz .LBB1_281
	s_branch .LBB1_282
	.section	.rodata,"a",@progbits
	.p2align	6, 0x0
	.amdhsa_kernel _Z13computeKerneliiPKfPKbiiPfPi
		.amdhsa_group_segment_fixed_size 0
		.amdhsa_private_segment_fixed_size 224
		.amdhsa_kernarg_size 48
		.amdhsa_user_sgpr_count 8
		.amdhsa_user_sgpr_private_segment_buffer 1
		.amdhsa_user_sgpr_dispatch_ptr 0
		.amdhsa_user_sgpr_queue_ptr 0
		.amdhsa_user_sgpr_kernarg_segment_ptr 1
		.amdhsa_user_sgpr_dispatch_id 0
		.amdhsa_user_sgpr_flat_scratch_init 1
		.amdhsa_user_sgpr_kernarg_preload_length 0
		.amdhsa_user_sgpr_kernarg_preload_offset 0
		.amdhsa_user_sgpr_private_segment_size 0
		.amdhsa_uses_dynamic_stack 0
		.amdhsa_system_sgpr_private_segment_wavefront_offset 1
		.amdhsa_system_sgpr_workgroup_id_x 1
		.amdhsa_system_sgpr_workgroup_id_y 0
		.amdhsa_system_sgpr_workgroup_id_z 0
		.amdhsa_system_sgpr_workgroup_info 0
		.amdhsa_system_vgpr_workitem_id 0
		.amdhsa_next_free_vgpr 38
		.amdhsa_next_free_sgpr 47
		.amdhsa_accum_offset 40
		.amdhsa_reserve_vcc 1
		.amdhsa_reserve_flat_scratch 0
		.amdhsa_float_round_mode_32 0
		.amdhsa_float_round_mode_16_64 0
		.amdhsa_float_denorm_mode_32 3
		.amdhsa_float_denorm_mode_16_64 3
		.amdhsa_dx10_clamp 1
		.amdhsa_ieee_mode 1
		.amdhsa_fp16_overflow 0
		.amdhsa_tg_split 0
		.amdhsa_exception_fp_ieee_invalid_op 0
		.amdhsa_exception_fp_denorm_src 0
		.amdhsa_exception_fp_ieee_div_zero 0
		.amdhsa_exception_fp_ieee_overflow 0
		.amdhsa_exception_fp_ieee_underflow 0
		.amdhsa_exception_fp_ieee_inexact 0
		.amdhsa_exception_int_div_zero 0
	.end_amdhsa_kernel
	.text
.Lfunc_end1:
	.size	_Z13computeKerneliiPKfPKbiiPfPi, .Lfunc_end1-_Z13computeKerneliiPKfPKbiiPfPi
                                        ; -- End function
	.section	.AMDGPU.csdata,"",@progbits
; Kernel info:
; codeLenInByte = 9376
; NumSgprs: 51
; NumVgprs: 38
; NumAgprs: 0
; TotalNumVgprs: 38
; ScratchSize: 224
; MemoryBound: 0
; FloatMode: 240
; IeeeMode: 1
; LDSByteSize: 0 bytes/workgroup (compile time only)
; SGPRBlocks: 6
; VGPRBlocks: 4
; NumSGPRsForWavesPerEU: 51
; NumVGPRsForWavesPerEU: 38
; AccumOffset: 40
; Occupancy: 8
; WaveLimiterHint : 0
; COMPUTE_PGM_RSRC2:SCRATCH_EN: 1
; COMPUTE_PGM_RSRC2:USER_SGPR: 8
; COMPUTE_PGM_RSRC2:TRAP_HANDLER: 0
; COMPUTE_PGM_RSRC2:TGID_X_EN: 1
; COMPUTE_PGM_RSRC2:TGID_Y_EN: 0
; COMPUTE_PGM_RSRC2:TGID_Z_EN: 0
; COMPUTE_PGM_RSRC2:TIDIG_COMP_CNT: 0
; COMPUTE_PGM_RSRC3_GFX90A:ACCUM_OFFSET: 9
; COMPUTE_PGM_RSRC3_GFX90A:TG_SPLIT: 0
	.text
	.p2alignl 6, 3212836864
	.fill 256, 4, 3212836864
	.type	__const._Z13computeKerneliiPKfPKbiiPfPi.parent,@object ; @__const._Z13computeKerneliiPKfPKbiiPfPi.parent
	.section	.rodata,"a",@progbits
	.p2align	4, 0x0
__const._Z13computeKerneliiPKfPKbiiPfPi.parent:
	.long	4294967295                      ; 0xffffffff
	.long	0                               ; 0x0
	.long	0                               ; 0x0
	;; [unrolled: 1-line block ×4, first 2 shown]
	.size	__const._Z13computeKerneliiPKfPKbiiPfPi.parent, 20

	.type	__hip_cuid_ae21a70c5c670dd6,@object ; @__hip_cuid_ae21a70c5c670dd6
	.section	.bss,"aw",@nobits
	.globl	__hip_cuid_ae21a70c5c670dd6
__hip_cuid_ae21a70c5c670dd6:
	.byte	0                               ; 0x0
	.size	__hip_cuid_ae21a70c5c670dd6, 1

	.ident	"AMD clang version 19.0.0git (https://github.com/RadeonOpenCompute/llvm-project roc-6.4.0 25133 c7fe45cf4b819c5991fe208aaa96edf142730f1d)"
	.section	".note.GNU-stack","",@progbits
	.addrsig
	.addrsig_sym __hip_cuid_ae21a70c5c670dd6
	.amdgpu_metadata
---
amdhsa.kernels:
  - .agpr_count:     0
    .args:
      - .offset:         0
        .size:           4
        .value_kind:     by_value
      - .address_space:  global
        .offset:         8
        .size:           8
        .value_kind:     global_buffer
      - .address_space:  global
        .offset:         16
        .size:           8
        .value_kind:     global_buffer
      - .address_space:  global
        .offset:         24
        .size:           8
        .value_kind:     global_buffer
    .group_segment_fixed_size: 0
    .kernarg_segment_align: 8
    .kernarg_segment_size: 32
    .language:       OpenCL C
    .language_version:
      - 2
      - 0
    .max_flat_workgroup_size: 1024
    .name:           _Z14genScoreKerneliPfPKiPKf
    .private_segment_fixed_size: 192
    .sgpr_count:     62
    .sgpr_spill_count: 0
    .symbol:         _Z14genScoreKerneliPfPKiPKf.kd
    .uniform_work_group_size: 1
    .uses_dynamic_stack: false
    .vgpr_count:     71
    .vgpr_spill_count: 0
    .wavefront_size: 64
  - .agpr_count:     0
    .args:
      - .offset:         0
        .size:           4
        .value_kind:     by_value
      - .offset:         4
        .size:           4
        .value_kind:     by_value
      - .address_space:  global
        .offset:         8
        .size:           8
        .value_kind:     global_buffer
      - .address_space:  global
        .offset:         16
        .size:           8
        .value_kind:     global_buffer
      - .offset:         24
        .size:           4
        .value_kind:     by_value
      - .offset:         28
        .size:           4
        .value_kind:     by_value
      - .address_space:  global
        .offset:         32
        .size:           8
        .value_kind:     global_buffer
      - .address_space:  global
        .offset:         40
        .size:           8
        .value_kind:     global_buffer
    .group_segment_fixed_size: 0
    .kernarg_segment_align: 8
    .kernarg_segment_size: 48
    .language:       OpenCL C
    .language_version:
      - 2
      - 0
    .max_flat_workgroup_size: 1024
    .name:           _Z13computeKerneliiPKfPKbiiPfPi
    .private_segment_fixed_size: 224
    .sgpr_count:     51
    .sgpr_spill_count: 0
    .symbol:         _Z13computeKerneliiPKfPKbiiPfPi.kd
    .uniform_work_group_size: 1
    .uses_dynamic_stack: false
    .vgpr_count:     38
    .vgpr_spill_count: 0
    .wavefront_size: 64
amdhsa.target:   amdgcn-amd-amdhsa--gfx90a
amdhsa.version:
  - 1
  - 2
...

	.end_amdgpu_metadata
